;; amdgpu-corpus repo=ROCm/rocFFT kind=compiled arch=gfx1030 opt=O3
	.text
	.amdgcn_target "amdgcn-amd-amdhsa--gfx1030"
	.amdhsa_code_object_version 6
	.protected	bluestein_single_fwd_len3645_dim1_half_op_CI_CI ; -- Begin function bluestein_single_fwd_len3645_dim1_half_op_CI_CI
	.globl	bluestein_single_fwd_len3645_dim1_half_op_CI_CI
	.p2align	8
	.type	bluestein_single_fwd_len3645_dim1_half_op_CI_CI,@function
bluestein_single_fwd_len3645_dim1_half_op_CI_CI: ; @bluestein_single_fwd_len3645_dim1_half_op_CI_CI
; %bb.0:
	s_load_dwordx4 s[16:19], s[4:5], 0x28
	v_mul_u32_u24_e32 v1, 0x10e, v0
	v_mov_b32_e32 v2, 0
	s_mov_b32 s0, exec_lo
	v_lshrrev_b32_e32 v3, 16, v1
	v_add_nc_u32_e32 v1, s6, v3
	s_waitcnt lgkmcnt(0)
	v_cmpx_gt_u64_e64 s[16:17], v[1:2]
	s_cbranch_execz .LBB0_2
; %bb.1:
	s_clause 0x1
	s_load_dwordx4 s[8:11], s[4:5], 0x18
	s_load_dwordx4 s[0:3], s[4:5], 0x0
	v_mul_lo_u16 v2, 0xf3, v3
	v_sub_nc_u16 v14, v0, v2
	v_and_b32_e32 v78, 0xffff, v14
	v_lshlrev_b32_e32 v62, 2, v78
	v_add_co_u32 v86, null, 0x3cc, v78
	s_waitcnt lgkmcnt(0)
	s_load_dwordx4 s[12:15], s[8:9], 0x0
	s_clause 0x1
	global_load_dword v71, v62, s[0:1]
	global_load_dword v72, v62, s[0:1] offset:972
	v_add_nc_u32_e32 v84, 0x780, v62
	v_add_nc_u32_e32 v83, 0x1e40, v62
	;; [unrolled: 1-line block ×8, first 2 shown]
	s_waitcnt lgkmcnt(0)
	v_mad_u64_u32 v[2:3], null, s14, v1, 0
	v_mad_u64_u32 v[4:5], null, s12, v78, 0
	s_mul_hi_u32 s7, s12, 0xb64
	s_mul_i32 s8, s12, 0xb64
	v_mov_b32_e32 v0, v3
	v_mov_b32_e32 v3, v5
	v_mad_u64_u32 v[5:6], null, s15, v1, v[0:1]
	v_add_co_u32 v0, s6, s0, v62
	v_mad_u64_u32 v[6:7], null, s13, v78, v[3:4]
	v_add_co_ci_u32_e64 v85, null, s1, 0, s6
	v_mov_b32_e32 v3, v5
	v_add_co_u32 v8, vcc_lo, 0x800, v0
	v_add_co_ci_u32_e32 v9, vcc_lo, 0, v85, vcc_lo
	v_add_co_u32 v12, vcc_lo, 0x1000, v0
	v_mov_b32_e32 v5, v6
	v_lshlrev_b64 v[2:3], 2, v[2:3]
	v_add_co_ci_u32_e32 v13, vcc_lo, 0, v85, vcc_lo
	v_add_co_u32 v15, vcc_lo, 0x2000, v0
	v_add_co_ci_u32_e32 v16, vcc_lo, 0, v85, vcc_lo
	v_lshlrev_b64 v[4:5], 2, v[4:5]
	v_add_co_u32 v2, vcc_lo, s18, v2
	v_add_co_ci_u32_e32 v3, vcc_lo, s19, v3, vcc_lo
	s_mul_i32 s6, s13, 0xb64
	v_add_co_u32 v2, vcc_lo, v2, v4
	v_add_co_ci_u32_e32 v3, vcc_lo, v3, v5, vcc_lo
	s_add_i32 s7, s7, s6
	v_add_co_u32 v4, vcc_lo, v2, s8
	v_add_co_ci_u32_e32 v5, vcc_lo, s7, v3, vcc_lo
	global_load_dword v6, v[2:3], off
	v_add_co_u32 v10, vcc_lo, v4, s8
	v_add_co_ci_u32_e32 v11, vcc_lo, s7, v5, vcc_lo
	global_load_dword v3, v[4:5], off
	v_add_co_u32 v17, vcc_lo, v10, s8
	v_add_co_ci_u32_e32 v18, vcc_lo, s7, v11, vcc_lo
	global_load_dword v73, v[8:9], off offset:868
	v_add_co_u32 v19, vcc_lo, v17, s8
	v_add_co_ci_u32_e32 v20, vcc_lo, s7, v18, vcc_lo
	global_load_dword v74, v[12:13], off offset:1736
	global_load_dword v2, v[10:11], off
	s_mul_i32 s6, s13, 0xffffd63c
	v_add_co_u32 v21, vcc_lo, 0x2800, v0
	v_mad_u64_u32 v[10:11], null, 0xffffd63c, s12, v[19:20]
	s_clause 0x1
	global_load_dword v5, v[17:18], off
	global_load_dword v7, v[19:20], off
	s_sub_i32 s6, s6, s12
	v_add_co_ci_u32_e32 v22, vcc_lo, 0, v85, vcc_lo
	v_add_co_u32 v23, vcc_lo, 0x1800, v0
	v_add_nc_u32_e32 v11, s6, v11
	v_add_co_ci_u32_e32 v24, vcc_lo, 0, v85, vcc_lo
	global_load_dword v75, v[15:16], off offset:556
	v_add_co_u32 v17, vcc_lo, v10, s8
	v_add_co_ci_u32_e32 v18, vcc_lo, s7, v11, vcc_lo
	global_load_dword v76, v[21:22], off offset:1424
	v_add_co_u32 v19, vcc_lo, v17, s8
	v_add_co_ci_u32_e32 v20, vcc_lo, s7, v18, vcc_lo
	global_load_dword v4, v[10:11], off
	v_add_co_u32 v10, vcc_lo, v19, s8
	v_add_co_ci_u32_e32 v11, vcc_lo, s7, v20, vcc_lo
	global_load_dword v77, v[8:9], off offset:1840
	global_load_dword v8, v[17:18], off
	v_add_co_u32 v17, vcc_lo, v10, s8
	v_add_co_ci_u32_e32 v18, vcc_lo, s7, v11, vcc_lo
	global_load_dword v70, v[23:24], off offset:660
	global_load_dword v9, v[19:20], off
	v_add_co_u32 v25, vcc_lo, 0x3000, v0
	v_mad_u64_u32 v[19:20], null, 0xffffd63c, s12, v[17:18]
	v_add_co_ci_u32_e32 v26, vcc_lo, 0, v85, vcc_lo
	global_load_dword v10, v[10:11], off
	s_clause 0x2
	global_load_dword v69, v[15:16], off offset:1528
	global_load_dword v67, v62, s[0:1] offset:1944
	global_load_dword v68, v[25:26], off offset:348
	global_load_dword v11, v[17:18], off
	global_load_dword v66, v[12:13], off offset:764
	v_add_nc_u32_e32 v20, s6, v20
	v_add_co_u32 v15, vcc_lo, v19, s8
	v_add_co_ci_u32_e32 v16, vcc_lo, s7, v20, vcc_lo
	v_add_co_u32 v17, vcc_lo, v15, s8
	global_load_dword v12, v[19:20], off
	v_add_co_ci_u32_e32 v18, vcc_lo, s7, v16, vcc_lo
	v_add_co_u32 v19, vcc_lo, v17, s8
	global_load_dword v13, v[15:16], off
	;; [unrolled: 3-line block ×3, first 2 shown]
	v_add_co_ci_u32_e32 v28, vcc_lo, s7, v20, vcc_lo
	global_load_dword v65, v[23:24], off offset:1632
	global_load_dword v17, v[19:20], off
	global_load_dword v18, v[27:28], off
	s_clause 0x1
	global_load_dword v64, v[21:22], off offset:452
	global_load_dword v63, v[25:26], off offset:1320
	v_mov_b32_e32 v22, 0xcccd
	v_add_co_u32 v19, null, 0x1e6, v78
	v_add_co_u32 v21, s0, 0xf3, v78
	s_load_dwordx4 s[24:27], s[10:11], 0x0
	v_mul_u32_u24_e32 v27, 5, v19
	v_mul_u32_u24_sdwa v29, v19, v22 dst_sel:DWORD dst_unused:UNUSED_PAD src0_sel:WORD_0 src1_sel:DWORD
	v_mul_u32_u24_sdwa v28, v21, v22 dst_sel:DWORD dst_unused:UNUSED_PAD src0_sel:WORD_0 src1_sel:DWORD
	v_mov_b32_e32 v15, 2
	v_mul_lo_u16 v20, v14, 5
	v_lshlrev_b32_e32 v111, 2, v27
	v_and_b32_e32 v23, 0xff, v14
	v_lshrrev_b32_e32 v27, 18, v28
	v_lshrrev_b32_e32 v28, 18, v29
	v_lshlrev_b32_sdwa v94, v15, v20 dst_sel:DWORD dst_unused:UNUSED_PAD src0_sel:DWORD src1_sel:WORD_0
	v_add_co_u32 v20, null, 0x2d9, v78
	v_mul_lo_u16 v35, v27, 5
	v_mul_lo_u16 v24, 0xcd, v23
	v_mul_u32_u24_sdwa v25, v86, v22 dst_sel:DWORD dst_unused:UNUSED_PAD src0_sel:WORD_0 src1_sel:DWORD
	v_mul_u32_u24_e32 v26, 5, v21
	v_mul_u32_u24_sdwa v22, v20, v22 dst_sel:DWORD dst_unused:UNUSED_PAD src0_sel:WORD_0 src1_sel:DWORD
	v_add_co_ci_u32_e64 v87, null, 0, 0, s0
	v_lshrrev_b16 v24, 10, v24
	v_lshrrev_b32_e32 v25, 18, v25
	v_lshlrev_b32_e32 v112, 2, v26
	v_lshrrev_b32_e32 v22, 18, v22
	v_cmp_gt_u16_e32 vcc_lo, 0x87, v14
	v_mul_lo_u16 v26, v24, 5
	v_mul_lo_u16 v30, v25, 5
	s_waitcnt lgkmcnt(0)
	s_mul_hi_u32 s28, s24, 0xb64
	s_mul_i32 s23, s24, 0xb64
	v_sub_nc_u16 v26, v14, v26
	v_and_b32_e32 v26, 0xff, v26
	s_waitcnt vmcnt(27)
	v_lshrrev_b32_e32 v29, 16, v6
	v_mul_f16_sdwa v31, v71, v6 dst_sel:DWORD dst_unused:UNUSED_PAD src0_sel:WORD_1 src1_sel:DWORD
	v_mul_f16_sdwa v32, v71, v29 dst_sel:DWORD dst_unused:UNUSED_PAD src0_sel:WORD_1 src1_sel:DWORD
	s_waitcnt vmcnt(26)
	v_lshrrev_b32_e32 v33, 16, v3
	v_fma_f16 v29, v71, v29, -v31
	s_waitcnt vmcnt(25)
	v_mul_f16_sdwa v34, v73, v3 dst_sel:DWORD dst_unused:UNUSED_PAD src0_sel:WORD_1 src1_sel:DWORD
	v_fmac_f16_e32 v32, v71, v6
	v_mul_f16_sdwa v6, v73, v33 dst_sel:DWORD dst_unused:UNUSED_PAD src0_sel:WORD_1 src1_sel:DWORD
	v_fma_f16 v31, v73, v33, -v34
	s_waitcnt vmcnt(23)
	v_lshrrev_b32_e32 v33, 16, v2
	v_mul_f16_sdwa v34, v74, v2 dst_sel:DWORD dst_unused:UNUSED_PAD src0_sel:WORD_1 src1_sel:DWORD
	v_fmac_f16_e32 v6, v73, v3
	v_pack_b32_f16 v29, v32, v29
	s_waitcnt vmcnt(22)
	v_lshrrev_b32_e32 v3, 16, v5
	v_mul_f16_sdwa v32, v74, v33 dst_sel:DWORD dst_unused:UNUSED_PAD src0_sel:WORD_1 src1_sel:DWORD
	v_fma_f16 v33, v74, v33, -v34
	v_pack_b32_f16 v6, v6, v31
	s_waitcnt vmcnt(21)
	v_lshrrev_b32_e32 v36, 16, v7
	v_fmac_f16_e32 v32, v74, v2
	ds_write_b32 v62, v6 offset:2916
	s_waitcnt vmcnt(20)
	v_mul_f16_sdwa v34, v75, v5 dst_sel:DWORD dst_unused:UNUSED_PAD src0_sel:WORD_1 src1_sel:DWORD
	v_mul_f16_sdwa v31, v75, v3 dst_sel:DWORD dst_unused:UNUSED_PAD src0_sel:WORD_1 src1_sel:DWORD
	v_pack_b32_f16 v6, v32, v33
	v_fma_f16 v2, v75, v3, -v34
	s_waitcnt vmcnt(19)
	v_mul_f16_sdwa v3, v76, v7 dst_sel:DWORD dst_unused:UNUSED_PAD src0_sel:WORD_1 src1_sel:DWORD
	v_fmac_f16_e32 v31, v75, v5
	v_mul_f16_sdwa v5, v76, v36 dst_sel:DWORD dst_unused:UNUSED_PAD src0_sel:WORD_1 src1_sel:DWORD
	ds_write_b32 v62, v6 offset:5832
	s_waitcnt vmcnt(18)
	v_mul_f16_sdwa v6, v72, v4 dst_sel:DWORD dst_unused:UNUSED_PAD src0_sel:WORD_1 src1_sel:DWORD
	v_fma_f16 v3, v76, v36, -v3
	v_pack_b32_f16 v2, v31, v2
	v_fmac_f16_e32 v5, v76, v7
	v_lshrrev_b32_e32 v7, 16, v4
	v_lshlrev_b32_e32 v34, 3, v26
	ds_write_b32 v62, v2 offset:8748
	v_pack_b32_f16 v2, v5, v3
	v_mul_f16_sdwa v3, v72, v7 dst_sel:DWORD dst_unused:UNUSED_PAD src0_sel:WORD_1 src1_sel:DWORD
	s_waitcnt vmcnt(16)
	v_lshrrev_b32_e32 v5, 16, v8
	v_fma_f16 v6, v72, v7, -v6
	v_mul_f16_sdwa v7, v77, v8 dst_sel:DWORD dst_unused:UNUSED_PAD src0_sel:WORD_1 src1_sel:DWORD
	ds_write_b32 v62, v2 offset:11664
	v_fmac_f16_e32 v3, v72, v4
	v_mul_f16_sdwa v2, v77, v5 dst_sel:DWORD dst_unused:UNUSED_PAD src0_sel:WORD_1 src1_sel:DWORD
	s_waitcnt vmcnt(14)
	v_lshrrev_b32_e32 v4, 16, v9
	v_fma_f16 v5, v77, v5, -v7
	s_waitcnt vmcnt(13)
	v_lshrrev_b32_e32 v7, 16, v10
	v_pack_b32_f16 v3, v3, v6
	v_fmac_f16_e32 v2, v77, v8
	v_mul_f16_sdwa v31, v70, v9 dst_sel:DWORD dst_unused:UNUSED_PAD src0_sel:WORD_1 src1_sel:DWORD
	v_mul_f16_sdwa v6, v70, v4 dst_sel:DWORD dst_unused:UNUSED_PAD src0_sel:WORD_1 src1_sel:DWORD
	s_waitcnt vmcnt(12)
	v_mul_f16_sdwa v8, v69, v10 dst_sel:DWORD dst_unused:UNUSED_PAD src0_sel:WORD_1 src1_sel:DWORD
	ds_write2_b32 v62, v29, v3 offset1:243
	s_waitcnt vmcnt(9)
	v_lshrrev_b32_e32 v3, 16, v11
	v_pack_b32_f16 v2, v2, v5
	v_mul_f16_sdwa v5, v69, v7 dst_sel:DWORD dst_unused:UNUSED_PAD src0_sel:WORD_1 src1_sel:DWORD
	v_fma_f16 v4, v70, v4, -v31
	v_fmac_f16_e32 v6, v70, v9
	v_mul_f16_sdwa v9, v68, v11 dst_sel:DWORD dst_unused:UNUSED_PAD src0_sel:WORD_1 src1_sel:DWORD
	v_fma_f16 v7, v69, v7, -v8
	v_mul_f16_sdwa v8, v68, v3 dst_sel:DWORD dst_unused:UNUSED_PAD src0_sel:WORD_1 src1_sel:DWORD
	v_fmac_f16_e32 v5, v69, v10
	v_pack_b32_f16 v4, v6, v4
	v_fma_f16 v3, v68, v3, -v9
	s_waitcnt vmcnt(7)
	v_lshrrev_b32_e32 v6, 16, v12
	v_fmac_f16_e32 v8, v68, v11
	v_pack_b32_f16 v5, v5, v7
	v_mul_f16_sdwa v7, v67, v12 dst_sel:DWORD dst_unused:UNUSED_PAD src0_sel:WORD_1 src1_sel:DWORD
	s_waitcnt vmcnt(6)
	v_lshrrev_b32_e32 v9, 16, v13
	v_mul_f16_sdwa v10, v67, v6 dst_sel:DWORD dst_unused:UNUSED_PAD src0_sel:WORD_1 src1_sel:DWORD
	v_pack_b32_f16 v3, v8, v3
	v_mul_f16_sdwa v8, v66, v13 dst_sel:DWORD dst_unused:UNUSED_PAD src0_sel:WORD_1 src1_sel:DWORD
	v_fma_f16 v6, v67, v6, -v7
	v_mul_f16_sdwa v7, v66, v9 dst_sel:DWORD dst_unused:UNUSED_PAD src0_sel:WORD_1 src1_sel:DWORD
	s_waitcnt vmcnt(5)
	v_lshrrev_b32_e32 v11, 16, v16
	v_fmac_f16_e32 v10, v67, v12
	v_fma_f16 v8, v66, v9, -v8
	s_waitcnt vmcnt(4)
	v_mul_f16_sdwa v9, v65, v16 dst_sel:DWORD dst_unused:UNUSED_PAD src0_sel:WORD_1 src1_sel:DWORD
	s_waitcnt vmcnt(3)
	v_lshrrev_b32_e32 v12, 16, v17
	s_waitcnt vmcnt(2)
	v_lshrrev_b32_e32 v29, 16, v18
	v_fmac_f16_e32 v7, v66, v13
	v_mul_f16_sdwa v13, v65, v11 dst_sel:DWORD dst_unused:UNUSED_PAD src0_sel:WORD_1 src1_sel:DWORD
	v_fma_f16 v9, v65, v11, -v9
	s_waitcnt vmcnt(1)
	v_mul_f16_sdwa v11, v64, v17 dst_sel:DWORD dst_unused:UNUSED_PAD src0_sel:WORD_1 src1_sel:DWORD
	v_mul_f16_sdwa v31, v64, v12 dst_sel:DWORD dst_unused:UNUSED_PAD src0_sel:WORD_1 src1_sel:DWORD
	s_waitcnt vmcnt(0)
	v_mul_f16_sdwa v32, v63, v18 dst_sel:DWORD dst_unused:UNUSED_PAD src0_sel:WORD_1 src1_sel:DWORD
	v_mul_f16_sdwa v33, v63, v29 dst_sel:DWORD dst_unused:UNUSED_PAD src0_sel:WORD_1 src1_sel:DWORD
	v_fmac_f16_e32 v13, v65, v16
	v_fma_f16 v11, v64, v12, -v11
	v_fmac_f16_e32 v31, v64, v17
	v_fma_f16 v12, v63, v29, -v32
	v_fmac_f16_e32 v33, v63, v18
	v_pack_b32_f16 v6, v10, v6
	v_pack_b32_f16 v7, v7, v8
	;; [unrolled: 1-line block ×5, first 2 shown]
	ds_write_b32 v62, v6 offset:1944
	ds_write2_b32 v80, v2, v7 offset0:12 offset1:255
	ds_write2_b32 v113, v4, v8 offset0:5 offset1:248
	;; [unrolled: 1-line block ×4, first 2 shown]
	s_waitcnt lgkmcnt(0)
	s_barrier
	buffer_gl0_inv
	ds_read2_b32 v[2:3], v62 offset1:243
	ds_read2_b32 v[4:5], v80 offset0:12 offset1:255
	ds_read2_b32 v[6:7], v82 offset0:2 offset1:245
	;; [unrolled: 1-line block ×6, first 2 shown]
	v_sub_nc_u16 v31, v21, v35
	ds_read_b32 v35, v62 offset:13608
	v_mul_lo_u16 v18, v28, 5
	v_sub_nc_u16 v29, v86, v30
	v_mul_lo_u16 v30, v22, 5
	v_lshlrev_b16 v33, 1, v31
	s_waitcnt lgkmcnt(0)
	v_sub_nc_u16 v18, v19, v18
	v_lshlrev_b16 v32, 1, v29
	v_sub_nc_u16 v30, v20, v30
	s_barrier
	buffer_gl0_inv
	v_lshlrev_b32_sdwa v32, v15, v32 dst_sel:DWORD dst_unused:UNUSED_PAD src0_sel:DWORD src1_sel:WORD_0
	v_pk_add_f16 v36, v3, v4
	v_pk_add_f16 v40, v4, v7 neg_lo:[0,1] neg_hi:[0,1]
	v_pk_add_f16 v37, v7, v8
	v_pk_add_f16 v38, v4, v11 neg_lo:[0,1] neg_hi:[0,1]
	v_pk_add_f16 v39, v7, v8 neg_lo:[0,1] neg_hi:[0,1]
	;; [unrolled: 1-line block ×3, first 2 shown]
	v_pk_add_f16 v42, v4, v11
	v_pk_add_f16 v43, v12, v5
	;; [unrolled: 1-line block ×4, first 2 shown]
	v_pk_add_f16 v46, v13, v10 neg_lo:[0,1] neg_hi:[0,1]
	v_pk_add_f16 v47, v6, v17 neg_lo:[0,1] neg_hi:[0,1]
	v_pk_add_f16 v48, v13, v10
	v_pk_add_f16 v49, v13, v6 neg_lo:[0,1] neg_hi:[0,1]
	v_pk_add_f16 v52, v10, v17 neg_lo:[0,1] neg_hi:[0,1]
	;; [unrolled: 1-line block ×3, first 2 shown]
	v_pk_add_f16 v50, v16, v9
	v_pk_add_f16 v51, v5, v35
	v_pk_add_f16 v13, v6, v13 neg_lo:[0,1] neg_hi:[0,1]
	v_pk_add_f16 v53, v5, v35 neg_lo:[0,1] neg_hi:[0,1]
	v_pk_add_f16 v54, v5, v16 neg_lo:[0,1] neg_hi:[0,1]
	v_pk_add_f16 v5, v16, v5 neg_lo:[0,1] neg_hi:[0,1]
	v_pk_add_f16 v56, v16, v9 neg_lo:[0,1] neg_hi:[0,1]
	v_pk_fma_f16 v37, v37, 0.5, v3 op_sel_hi:[1,0,1] neg_lo:[1,0,0] neg_hi:[1,0,0]
	v_pk_fma_f16 v3, v42, 0.5, v3 op_sel_hi:[1,0,1] neg_lo:[1,0,0] neg_hi:[1,0,0]
	;; [unrolled: 1-line block ×4, first 2 shown]
	v_pk_add_f16 v7, v36, v7
	v_pk_add_f16 v6, v44, v6
	;; [unrolled: 1-line block ×4, first 2 shown]
	v_pk_mul_f16 v41, 0x3b9c, v38 op_sel_hi:[0,1]
	v_pk_add_f16 v43, v49, v52
	v_pk_mul_f16 v44, 0x38b4, v39 op_sel_hi:[0,1]
	v_pk_mul_f16 v39, 0x3b9c, v39 op_sel_hi:[0,1]
	;; [unrolled: 1-line block ×4, first 2 shown]
	v_pk_add_f16 v55, v17, v10 neg_lo:[0,1] neg_hi:[0,1]
	v_pk_add_f16 v57, v8, v11 neg_lo:[0,1] neg_hi:[0,1]
	;; [unrolled: 1-line block ×4, first 2 shown]
	v_pk_fma_f16 v36, v50, 0.5, v12 op_sel_hi:[1,0,1] neg_lo:[1,0,0] neg_hi:[1,0,0]
	v_pk_fma_f16 v12, v51, 0.5, v12 op_sel_hi:[1,0,1] neg_lo:[1,0,0] neg_hi:[1,0,0]
	v_pk_mul_f16 v50, 0x3b9c, v53 op_sel_hi:[0,1]
	v_pk_mul_f16 v51, 0x3b9c, v56 op_sel_hi:[0,1]
	;; [unrolled: 1-line block ×5, first 2 shown]
	v_pk_add_f16 v6, v6, v17
	v_pk_add_f16 v7, v7, v8
	;; [unrolled: 1-line block ×3, first 2 shown]
	v_pk_add_f16 v9, v37, v41 op_sel:[0,1] op_sel_hi:[1,0]
	v_pk_add_f16 v16, v37, v41 op_sel:[0,1] op_sel_hi:[1,0] neg_lo:[0,1] neg_hi:[0,1]
	v_pk_add_f16 v17, v3, v39 op_sel:[0,1] op_sel_hi:[1,0] neg_lo:[0,1] neg_hi:[0,1]
	v_pk_add_f16 v3, v3, v39 op_sel:[0,1] op_sel_hi:[1,0]
	v_pk_add_f16 v37, v42, v45 op_sel:[0,1] op_sel_hi:[1,0]
	v_pk_add_f16 v39, v42, v45 op_sel:[0,1] op_sel_hi:[1,0] neg_lo:[0,1] neg_hi:[0,1]
	v_pk_add_f16 v41, v2, v49 op_sel:[0,1] op_sel_hi:[1,0] neg_lo:[0,1] neg_hi:[0,1]
	v_pk_add_f16 v2, v2, v49 op_sel:[0,1] op_sel_hi:[1,0]
	v_pk_mul_f16 v52, 0x38b4, v56 op_sel_hi:[0,1]
	v_pk_mul_f16 v53, 0x38b4, v53 op_sel_hi:[0,1]
	v_pk_add_f16 v42, v36, v50 op_sel:[0,1] op_sel_hi:[1,0]
	v_pk_add_f16 v36, v36, v50 op_sel:[0,1] op_sel_hi:[1,0] neg_lo:[0,1] neg_hi:[0,1]
	v_pk_add_f16 v45, v12, v51 op_sel:[0,1] op_sel_hi:[1,0] neg_lo:[0,1] neg_hi:[0,1]
	v_pk_add_f16 v12, v12, v51 op_sel:[0,1] op_sel_hi:[1,0]
	v_pk_add_f16 v7, v7, v11
	v_pk_add_f16 v6, v6, v10
	v_pk_add_f16 v9, v9, v44 op_sel:[0,1] op_sel_hi:[1,0]
	v_pk_add_f16 v10, v16, v44 op_sel:[0,1] op_sel_hi:[1,0] neg_lo:[0,1] neg_hi:[0,1]
	v_pk_add_f16 v11, v17, v38 op_sel:[0,1] op_sel_hi:[1,0]
	v_pk_add_f16 v3, v3, v38 op_sel:[0,1] op_sel_hi:[1,0] neg_lo:[0,1] neg_hi:[0,1]
	v_pk_add_f16 v8, v8, v35
	v_pk_add_f16 v16, v37, v47 op_sel:[0,1] op_sel_hi:[1,0]
	v_pk_add_f16 v17, v39, v47 op_sel:[0,1] op_sel_hi:[1,0] neg_lo:[0,1] neg_hi:[0,1]
	v_pk_add_f16 v35, v41, v46 op_sel:[0,1] op_sel_hi:[1,0]
	v_pk_add_f16 v2, v2, v46 op_sel:[0,1] op_sel_hi:[1,0] neg_lo:[0,1] neg_hi:[0,1]
	;; [unrolled: 5-line block ×3, first 2 shown]
	v_bfi_b32 v39, 0xffff, v11, v3
	v_bfi_b32 v3, 0xffff, v3, v11
	;; [unrolled: 1-line block ×7, first 2 shown]
	v_pk_add_f16 v13, v13, v55
	v_bfi_b32 v16, 0xffff, v17, v16
	v_pk_add_f16 v48, v54, v58
	v_pk_add_f16 v5, v5, v59
	v_bfi_b32 v17, 0xffff, v38, v12
	v_bfi_b32 v12, 0xffff, v12, v38
	;; [unrolled: 1-line block ×4, first 2 shown]
	v_pk_fma_f16 v37, 0x34f2, v4, v39 op_sel_hi:[0,1,1]
	v_pk_fma_f16 v3, 0x34f2, v4, v3 op_sel_hi:[0,1,1]
	;; [unrolled: 1-line block ×12, first 2 shown]
	ds_write2_b32 v94, v6, v11 offset1:1
	ds_write2_b32 v94, v10, v2 offset0:2 offset1:3
	ds_write_b32 v94, v13 offset:16
	ds_write2_b32 v112, v7, v4 offset1:1
	ds_write2_b32 v112, v37, v3 offset0:2 offset1:3
	ds_write_b32 v112, v9 offset:16
	;; [unrolled: 3-line block ×3, first 2 shown]
	v_lshlrev_b16 v2, 1, v18
	v_lshlrev_b32_sdwa v3, v15, v33 dst_sel:DWORD dst_unused:UNUSED_PAD src0_sel:DWORD src1_sel:WORD_0
	v_lshlrev_b16 v4, 1, v30
	s_waitcnt lgkmcnt(0)
	s_barrier
	v_lshlrev_b32_sdwa v2, v15, v2 dst_sel:DWORD dst_unused:UNUSED_PAD src0_sel:DWORD src1_sel:WORD_0
	buffer_gl0_inv
	s_clause 0x2
	global_load_dwordx2 v[56:57], v32, s[2:3]
	global_load_dwordx2 v[52:53], v34, s[2:3]
	;; [unrolled: 1-line block ×3, first 2 shown]
	v_lshlrev_b32_sdwa v3, v15, v4 dst_sel:DWORD dst_unused:UNUSED_PAD src0_sel:DWORD src1_sel:WORD_0
	s_clause 0x1
	global_load_dwordx2 v[58:59], v2, s[2:3]
	global_load_dwordx2 v[60:61], v3, s[2:3]
	v_mov_b32_e32 v2, 0x8889
	v_mul_lo_u16 v4, 0x89, v23
	v_mov_b32_e32 v3, 15
	v_mul_u32_u24_sdwa v5, v86, v2 dst_sel:DWORD dst_unused:UNUSED_PAD src0_sel:WORD_0 src1_sel:DWORD
	v_mul_u32_u24_sdwa v6, v21, v2 dst_sel:DWORD dst_unused:UNUSED_PAD src0_sel:WORD_0 src1_sel:DWORD
	;; [unrolled: 1-line block ×4, first 2 shown]
	v_lshrrev_b16 v32, 11, v4
	v_lshrrev_b32_e32 v33, 19, v5
	v_lshrrev_b32_e32 v34, 19, v6
	;; [unrolled: 1-line block ×4, first 2 shown]
	v_mul_lo_u16 v2, v32, 15
	v_mul_lo_u16 v4, v33, 15
	;; [unrolled: 1-line block ×5, first 2 shown]
	v_mul_u32_u24_sdwa v3, v24, v3 dst_sel:DWORD dst_unused:UNUSED_PAD src0_sel:WORD_0 src1_sel:DWORD
	v_sub_nc_u16 v2, v14, v2
	v_sub_nc_u16 v37, v86, v4
	;; [unrolled: 1-line block ×5, first 2 shown]
	v_and_b32_e32 v41, 0xff, v2
	v_add_lshl_u32 v106, v3, v26, 2
	v_mad_u16 v2, v27, 15, v31
	v_mad_u16 v3, v28, 15, v18
	v_mad_u16 v4, v22, 15, v30
	v_mad_u16 v5, v25, 15, v29
	v_lshlrev_b16 v6, 3, v37
	v_lshlrev_b16 v7, 3, v38
	;; [unrolled: 1-line block ×4, first 2 shown]
	v_lshlrev_b32_sdwa v110, v15, v2 dst_sel:DWORD dst_unused:UNUSED_PAD src0_sel:DWORD src1_sel:WORD_0
	v_lshlrev_b32_sdwa v109, v15, v3 dst_sel:DWORD dst_unused:UNUSED_PAD src0_sel:DWORD src1_sel:WORD_0
	;; [unrolled: 1-line block ×4, first 2 shown]
	ds_read2_b32 v[2:3], v83 offset0:8 offset1:251
	ds_read_b32 v29, v62 offset:13608
	ds_read2_b32 v[4:5], v80 offset0:12 offset1:255
	v_and_b32_e32 v12, 0xffff, v6
	v_and_b32_e32 v22, 0xffff, v7
	;; [unrolled: 1-line block ×4, first 2 shown]
	ds_read2_b32 v[6:7], v79 offset0:6 offset1:249
	ds_read2_b32 v[8:9], v82 offset0:2 offset1:245
	ds_read2_b32 v[10:11], v62 offset1:243
	ds_read2_b32 v[16:17], v81 offset0:4 offset1:247
	ds_read2_b32 v[24:25], v84 offset0:6 offset1:249
	v_add_co_u32 v12, s0, s2, v12
	v_add_co_ci_u32_e64 v13, null, s3, 0, s0
	v_add_co_u32 v26, s0, s2, v22
	v_lshlrev_b32_e32 v18, 3, v41
	v_add_co_ci_u32_e64 v27, null, s3, 0, s0
	s_waitcnt vmcnt(0) lgkmcnt(0)
	s_barrier
	v_lshrrev_b32_e32 v22, 16, v3
	v_lshrrev_b32_e32 v31, 16, v29
	;; [unrolled: 1-line block ×15, first 2 shown]
	buffer_gl0_inv
	v_mul_f16_sdwa v91, v22, v56 dst_sel:DWORD dst_unused:UNUSED_PAD src0_sel:DWORD src1_sel:WORD_1
	v_mul_f16_sdwa v92, v31, v57 dst_sel:DWORD dst_unused:UNUSED_PAD src0_sel:DWORD src1_sel:WORD_1
	;; [unrolled: 1-line block ×20, first 2 shown]
	v_fma_f16 v3, v3, v56, -v91
	v_fma_f16 v29, v29, v57, -v92
	v_fmac_f16_e32 v93, v22, v56
	v_fmac_f16_e32 v95, v31, v57
	v_fma_f16 v5, v5, v52, -v96
	v_fma_f16 v6, v6, v53, -v98
	v_fmac_f16_e32 v97, v43, v52
	v_fmac_f16_e32 v100, v44, v53
	;; [unrolled: 1-line block ×4, first 2 shown]
	v_fma_f16 v7, v7, v55, -v99
	v_fma_f16 v8, v8, v54, -v103
	;; [unrolled: 1-line block ×4, first 2 shown]
	v_fmac_f16_e32 v105, v49, v58
	v_fmac_f16_e32 v119, v51, v59
	;; [unrolled: 1-line block ×4, first 2 shown]
	v_fma_f16 v2, v2, v60, -v115
	v_fma_f16 v17, v17, v61, -v118
	v_add_f16_e32 v22, v3, v29
	v_add_f16_e32 v43, v93, v95
	v_sub_f16_e32 v44, v93, v95
	v_add_f16_e32 v45, v42, v93
	v_add_f16_e32 v50, v102, v101
	;; [unrolled: 1-line block ×9, first 2 shown]
	v_sub_f16_e32 v88, v102, v101
	v_add_f16_e32 v102, v116, v120
	v_add_f16_e32 v103, v89, v116
	v_sub_f16_e32 v104, v116, v120
	v_add_f16_e32 v115, v9, v16
	v_add_f16_e32 v116, v24, v9
	;; [unrolled: 1-line block ×5, first 2 shown]
	v_sub_f16_e32 v8, v8, v7
	v_sub_f16_e32 v97, v97, v100
	;; [unrolled: 1-line block ×3, first 2 shown]
	v_add_f16_e32 v98, v2, v17
	v_fmac_f16_e32 v4, -0.5, v22
	v_fmac_f16_e32 v47, -0.5, v50
	v_fma_f16 v10, -0.5, v91, v10
	v_add_f16_e32 v22, v93, v100
	v_add_f16_e32 v6, v92, v6
	v_fmac_f16_e32 v48, -0.5, v96
	v_sub_f16_e32 v3, v3, v29
	v_fmac_f16_e32 v42, -0.5, v43
	v_fmac_f16_e32 v11, -0.5, v46
	v_add_f16_e32 v99, v25, v2
	v_sub_f16_e32 v2, v2, v17
	v_sub_f16_e32 v105, v105, v119
	;; [unrolled: 1-line block ×3, first 2 shown]
	v_add_f16_e32 v7, v49, v7
	v_add_f16_e32 v43, v51, v101
	v_fmac_f16_e32 v89, -0.5, v102
	v_fma_f16 v24, -0.5, v115, v24
	v_add_f16_e32 v46, v117, v119
	v_add_f16_e32 v16, v116, v16
	v_fmac_f16_e32 v90, -0.5, v118
	v_fmac_f16_e32 v25, -0.5, v98
	v_fmamk_f16 v50, v8, 0xbaee, v47
	v_fmac_f16_e32 v47, 0x3aee, v8
	v_pack_b32_f16 v6, v6, v22
	v_fmamk_f16 v8, v97, 0x3aee, v10
	v_fmamk_f16 v22, v5, 0xbaee, v48
	v_fmac_f16_e32 v10, 0xbaee, v97
	v_fmac_f16_e32 v48, 0x3aee, v5
	v_add_f16_e32 v29, v31, v29
	v_add_f16_e32 v31, v45, v95
	v_fmamk_f16 v45, v44, 0x3aee, v4
	v_fmac_f16_e32 v4, 0xbaee, v44
	v_fmamk_f16 v44, v3, 0xbaee, v42
	v_fmac_f16_e32 v42, 0x3aee, v3
	;; [unrolled: 2-line block ×3, first 2 shown]
	v_pack_b32_f16 v5, v7, v43
	v_fmamk_f16 v43, v2, 0xbaee, v89
	v_fmac_f16_e32 v89, 0x3aee, v2
	v_pack_b32_f16 v2, v16, v46
	v_fmamk_f16 v16, v105, 0x3aee, v24
	v_fmamk_f16 v46, v9, 0xbaee, v90
	v_add_f16_e32 v17, v99, v17
	v_add_f16_e32 v49, v103, v120
	v_fmamk_f16 v7, v104, 0x3aee, v25
	v_fmac_f16_e32 v25, 0xbaee, v104
	v_fmac_f16_e32 v24, 0xbaee, v105
	;; [unrolled: 1-line block ×3, first 2 shown]
	v_pack_b32_f16 v8, v8, v22
	v_pack_b32_f16 v10, v10, v48
	;; [unrolled: 1-line block ×12, first 2 shown]
	ds_write2_b32 v106, v6, v8 offset1:5
	ds_write_b32 v106, v10 offset:40
	ds_write2_b32 v110, v5, v3 offset1:5
	ds_write_b32 v110, v11 offset:40
	;; [unrolled: 2-line block ×5, first 2 shown]
	v_add_co_u32 v2, s0, s2, v28
	v_add_co_ci_u32_e64 v3, null, s3, 0, s0
	v_add_co_u32 v4, s0, s2, v30
	s_waitcnt lgkmcnt(0)
	s_barrier
	buffer_gl0_inv
	s_clause 0x2
	global_load_dwordx2 v[46:47], v[12:13], off offset:40
	global_load_dwordx2 v[42:43], v18, s[2:3] offset:40
	global_load_dwordx2 v[44:45], v[26:27], off offset:40
	v_add_co_ci_u32_e64 v5, null, s3, 0, s0
	s_clause 0x1
	global_load_dwordx2 v[48:49], v[2:3], off offset:40
	global_load_dwordx2 v[50:51], v[4:5], off offset:40
	v_mul_lo_u16 v2, 0x6d, v23
	v_mov_b32_e32 v3, 0x2d83
	v_mov_b32_e32 v4, 45
	v_lshrrev_b16 v2, 8, v2
	v_mul_u32_u24_sdwa v5, v86, v3 dst_sel:DWORD dst_unused:UNUSED_PAD src0_sel:WORD_0 src1_sel:DWORD
	v_mul_u32_u24_sdwa v6, v21, v3 dst_sel:DWORD dst_unused:UNUSED_PAD src0_sel:WORD_0 src1_sel:DWORD
	;; [unrolled: 1-line block ×4, first 2 shown]
	v_sub_nc_u16 v8, v14, v2
	v_mul_u32_u24_sdwa v4, v32, v4 dst_sel:DWORD dst_unused:UNUSED_PAD src0_sel:WORD_0 src1_sel:DWORD
	v_lshrrev_b32_e32 v28, 19, v6
	v_lshrrev_b32_e32 v29, 19, v7
	;; [unrolled: 1-line block ×3, first 2 shown]
	v_lshrrev_b16 v3, 1, v8
	v_lshrrev_b32_e32 v18, 19, v5
	v_mul_lo_u16 v6, v28, 45
	v_mul_lo_u16 v7, v29, 45
	v_add_lshl_u32 v101, v4, v41, 2
	v_and_b32_e32 v3, 0x7f, v3
	v_mad_u16 v4, v34, 45, v38
	v_mul_lo_u16 v5, v18, 45
	v_mul_lo_u16 v8, v30, 45
	v_sub_nc_u16 v88, v21, v6
	v_add_nc_u16 v2, v3, v2
	v_sub_nc_u16 v89, v19, v7
	v_lshlrev_b32_sdwa v105, v15, v4 dst_sel:DWORD dst_unused:UNUSED_PAD src0_sel:DWORD src1_sel:WORD_0
	v_sub_nc_u16 v31, v86, v5
	v_sub_nc_u16 v90, v20, v8
	v_lshrrev_b16 v91, 5, v2
	v_mad_u16 v5, v35, 45, v39
	v_mad_u16 v6, v36, 45, v40
	;; [unrolled: 1-line block ×3, first 2 shown]
	v_lshlrev_b16 v8, 3, v88
	v_mul_lo_u16 v4, v91, 45
	v_lshlrev_b16 v9, 3, v89
	v_lshlrev_b32_sdwa v104, v15, v5 dst_sel:DWORD dst_unused:UNUSED_PAD src0_sel:DWORD src1_sel:WORD_0
	v_lshlrev_b32_sdwa v102, v15, v6 dst_sel:DWORD dst_unused:UNUSED_PAD src0_sel:DWORD src1_sel:WORD_0
	;; [unrolled: 1-line block ×3, first 2 shown]
	v_sub_nc_u16 v22, v14, v4
	v_and_b32_e32 v16, 0xffff, v8
	v_and_b32_e32 v26, 0xffff, v9
	ds_read_b32 v33, v62 offset:13608
	ds_read2_b32 v[4:5], v83 offset0:8 offset1:251
	ds_read2_b32 v[6:7], v80 offset0:12 offset1:255
	;; [unrolled: 1-line block ×4, first 2 shown]
	ds_read2_b32 v[12:13], v62 offset1:243
	v_lshlrev_b16 v3, 3, v31
	v_and_b32_e32 v92, 0xff, v22
	ds_read2_b32 v[22:23], v81 offset0:4 offset1:247
	ds_read2_b32 v[24:25], v84 offset0:6 offset1:249
	v_lshlrev_b16 v32, 3, v90
	s_waitcnt vmcnt(0) lgkmcnt(0)
	v_and_b32_e32 v2, 0xffff, v3
	s_barrier
	buffer_gl0_inv
	v_lshlrev_b32_e32 v34, 3, v92
	v_add_co_u32 v2, s0, s2, v2
	v_add_co_ci_u32_e64 v3, null, s3, 0, s0
	v_lshrrev_b32_e32 v35, 16, v33
	v_lshrrev_b32_e32 v36, 16, v5
	;; [unrolled: 1-line block ×15, first 2 shown]
	v_add_co_u32 v16, s0, s2, v16
	v_add_co_ci_u32_e64 v17, null, s3, 0, s0
	v_add_co_u32 v26, s0, s2, v26
	v_add_co_ci_u32_e64 v27, null, s3, 0, s0
	v_mul_f16_sdwa v120, v38, v42 dst_sel:DWORD dst_unused:UNUSED_PAD src0_sel:DWORD src1_sel:WORD_1
	v_mul_f16_sdwa v116, v35, v47 dst_sel:DWORD dst_unused:UNUSED_PAD src0_sel:DWORD src1_sel:WORD_1
	v_mul_f16_sdwa v117, v33, v47 dst_sel:DWORD dst_unused:UNUSED_PAD src0_sel:DWORD src1_sel:WORD_1
	v_mul_f16_sdwa v118, v5, v46 dst_sel:DWORD dst_unused:UNUSED_PAD src0_sel:DWORD src1_sel:WORD_1
	v_mul_f16_sdwa v119, v36, v46 dst_sel:DWORD dst_unused:UNUSED_PAD src0_sel:DWORD src1_sel:WORD_1
	v_mul_f16_sdwa v121, v7, v42 dst_sel:DWORD dst_unused:UNUSED_PAD src0_sel:DWORD src1_sel:WORD_1
	v_mul_f16_sdwa v122, v39, v43 dst_sel:DWORD dst_unused:UNUSED_PAD src0_sel:DWORD src1_sel:WORD_1
	v_mul_f16_sdwa v124, v8, v43 dst_sel:DWORD dst_unused:UNUSED_PAD src0_sel:DWORD src1_sel:WORD_1
	v_mul_f16_sdwa v125, v9, v45 dst_sel:DWORD dst_unused:UNUSED_PAD src0_sel:DWORD src1_sel:WORD_1
	v_mul_f16_sdwa v126, v10, v44 dst_sel:DWORD dst_unused:UNUSED_PAD src0_sel:DWORD src1_sel:WORD_1
	v_mul_f16_sdwa v123, v40, v45 dst_sel:DWORD dst_unused:UNUSED_PAD src0_sel:DWORD src1_sel:WORD_1
	v_mul_f16_sdwa v127, v41, v44 dst_sel:DWORD dst_unused:UNUSED_PAD src0_sel:DWORD src1_sel:WORD_1
	v_mul_f16_sdwa v128, v96, v48 dst_sel:DWORD dst_unused:UNUSED_PAD src0_sel:DWORD src1_sel:WORD_1
	v_mul_f16_sdwa v129, v11, v48 dst_sel:DWORD dst_unused:UNUSED_PAD src0_sel:DWORD src1_sel:WORD_1
	v_mul_f16_sdwa v131, v4, v50 dst_sel:DWORD dst_unused:UNUSED_PAD src0_sel:DWORD src1_sel:WORD_1
	v_mul_f16_sdwa v132, v98, v49 dst_sel:DWORD dst_unused:UNUSED_PAD src0_sel:DWORD src1_sel:WORD_1
	v_mul_f16_sdwa v134, v22, v49 dst_sel:DWORD dst_unused:UNUSED_PAD src0_sel:DWORD src1_sel:WORD_1
	v_mul_f16_sdwa v135, v23, v51 dst_sel:DWORD dst_unused:UNUSED_PAD src0_sel:DWORD src1_sel:WORD_1
	v_mul_f16_sdwa v130, v97, v50 dst_sel:DWORD dst_unused:UNUSED_PAD src0_sel:DWORD src1_sel:WORD_1
	v_mul_f16_sdwa v133, v99, v51 dst_sel:DWORD dst_unused:UNUSED_PAD src0_sel:DWORD src1_sel:WORD_1
	v_fma_f16 v33, v33, v47, -v116
	v_fmac_f16_e32 v117, v35, v47
	v_fmac_f16_e32 v118, v36, v46
	v_fma_f16 v5, v5, v46, -v119
	v_fma_f16 v7, v7, v42, -v120
	;; [unrolled: 1-line block ×3, first 2 shown]
	v_fmac_f16_e32 v121, v38, v42
	v_fmac_f16_e32 v124, v39, v43
	;; [unrolled: 1-line block ×4, first 2 shown]
	v_fma_f16 v9, v9, v45, -v123
	v_fma_f16 v10, v10, v44, -v127
	;; [unrolled: 1-line block ×4, first 2 shown]
	v_fmac_f16_e32 v129, v96, v48
	v_fmac_f16_e32 v134, v98, v49
	;; [unrolled: 1-line block ×4, first 2 shown]
	v_fma_f16 v4, v4, v50, -v130
	v_fma_f16 v23, v23, v51, -v133
	v_add_f16_e32 v35, v5, v33
	v_add_f16_e32 v38, v118, v117
	;; [unrolled: 1-line block ×3, first 2 shown]
	v_sub_f16_e32 v40, v118, v117
	v_add_f16_e32 v97, v126, v125
	v_add_f16_e32 v116, v7, v8
	;; [unrolled: 1-line block ×8, first 2 shown]
	v_sub_f16_e32 v99, v126, v125
	v_add_f16_e32 v126, v131, v135
	v_add_f16_e32 v127, v100, v131
	v_sub_f16_e32 v128, v131, v135
	v_add_f16_e32 v130, v11, v22
	v_add_f16_e32 v131, v24, v11
	;; [unrolled: 1-line block ×5, first 2 shown]
	v_sub_f16_e32 v10, v10, v9
	v_sub_f16_e32 v121, v121, v124
	;; [unrolled: 1-line block ×3, first 2 shown]
	v_add_f16_e32 v122, v4, v23
	v_fmac_f16_e32 v6, -0.5, v35
	v_fmac_f16_e32 v93, -0.5, v97
	v_fma_f16 v12, -0.5, v116, v12
	v_add_f16_e32 v35, v119, v124
	v_add_f16_e32 v8, v118, v8
	v_fmac_f16_e32 v95, -0.5, v120
	v_sub_f16_e32 v5, v5, v33
	v_fmac_f16_e32 v37, -0.5, v38
	v_fmac_f16_e32 v13, -0.5, v41
	v_add_f16_e32 v123, v25, v4
	v_sub_f16_e32 v4, v4, v23
	v_sub_f16_e32 v129, v129, v134
	;; [unrolled: 1-line block ×3, first 2 shown]
	v_add_f16_e32 v9, v96, v9
	v_add_f16_e32 v38, v98, v125
	v_fmac_f16_e32 v100, -0.5, v126
	v_fma_f16 v24, -0.5, v130, v24
	v_add_f16_e32 v41, v132, v134
	v_add_f16_e32 v22, v131, v22
	v_fmac_f16_e32 v115, -0.5, v133
	v_fmac_f16_e32 v25, -0.5, v122
	v_fmamk_f16 v97, v10, 0xbaee, v93
	v_fmac_f16_e32 v93, 0x3aee, v10
	v_pack_b32_f16 v8, v8, v35
	v_fmamk_f16 v10, v121, 0x3aee, v12
	v_fmamk_f16 v35, v7, 0xbaee, v95
	v_fmac_f16_e32 v12, 0xbaee, v121
	v_fmac_f16_e32 v95, 0x3aee, v7
	v_add_f16_e32 v33, v36, v33
	v_add_f16_e32 v36, v39, v117
	v_fmamk_f16 v39, v40, 0x3aee, v6
	v_fmac_f16_e32 v6, 0xbaee, v40
	v_fmamk_f16 v40, v5, 0xbaee, v37
	v_fmac_f16_e32 v37, 0x3aee, v5
	;; [unrolled: 2-line block ×3, first 2 shown]
	v_pack_b32_f16 v7, v9, v38
	v_fmamk_f16 v38, v4, 0xbaee, v100
	v_fmac_f16_e32 v100, 0x3aee, v4
	v_pack_b32_f16 v4, v22, v41
	v_fmamk_f16 v22, v129, 0x3aee, v24
	v_fmamk_f16 v41, v11, 0xbaee, v115
	v_add_f16_e32 v23, v123, v23
	v_add_f16_e32 v96, v127, v135
	v_fmamk_f16 v9, v128, 0x3aee, v25
	v_fmac_f16_e32 v25, 0xbaee, v128
	v_fmac_f16_e32 v24, 0xbaee, v129
	;; [unrolled: 1-line block ×3, first 2 shown]
	v_pack_b32_f16 v10, v10, v35
	v_pack_b32_f16 v12, v12, v95
	;; [unrolled: 1-line block ×12, first 2 shown]
	ds_write2_b32 v101, v8, v10 offset1:15
	ds_write_b32 v101, v12 offset:120
	ds_write2_b32 v105, v7, v5 offset1:15
	ds_write_b32 v105, v13 offset:120
	;; [unrolled: 2-line block ×5, first 2 shown]
	s_waitcnt lgkmcnt(0)
	s_barrier
	buffer_gl0_inv
	global_load_dwordx2 v[38:39], v[2:3], off offset:160
	v_and_b32_e32 v2, 0xffff, v32
	s_clause 0x2
	global_load_dwordx2 v[32:33], v34, s[2:3] offset:160
	global_load_dwordx2 v[34:35], v[16:17], off offset:160
	global_load_dwordx2 v[36:37], v[26:27], off offset:160
	v_mov_b32_e32 v5, 0x87
	v_add_co_u32 v2, s0, s2, v2
	v_add_co_ci_u32_e64 v3, null, s3, 0, s0
	global_load_dwordx2 v[40:41], v[2:3], off offset:160
	v_mov_b32_e32 v3, 0x795d
	v_add_co_u32 v2, s0, 0xffffff79, v78
	v_add_co_ci_u32_e64 v4, null, 0, -1, s0
	v_mul_u32_u24_sdwa v6, v86, v3 dst_sel:DWORD dst_unused:UNUSED_PAD src0_sel:WORD_0 src1_sel:DWORD
	v_mul_u32_u24_sdwa v7, v21, v3 dst_sel:DWORD dst_unused:UNUSED_PAD src0_sel:WORD_0 src1_sel:DWORD
	;; [unrolled: 1-line block ×4, first 2 shown]
	v_cndmask_b32_e32 v2, v2, v78, vcc_lo
	v_lshrrev_b32_e32 v93, 22, v6
	v_lshrrev_b32_e32 v95, 22, v7
	;; [unrolled: 1-line block ×4, first 2 shown]
	v_cndmask_b32_e64 v3, v4, 0, vcc_lo
	v_mul_lo_u16 v6, 0x87, v93
	v_mul_lo_u16 v7, 0x87, v95
	;; [unrolled: 1-line block ×4, first 2 shown]
	v_lshlrev_b64 v[3:4], 3, v[2:3]
	v_sub_nc_u16 v117, v86, v6
	v_sub_nc_u16 v118, v21, v7
	;; [unrolled: 1-line block ×4, first 2 shown]
	v_mad_u16 v6, 0x87, v28, v88
	v_mad_u16 v7, 0x87, v29, v89
	;; [unrolled: 1-line block ×4, first 2 shown]
	v_lshlrev_b16 v10, 3, v117
	v_lshlrev_b16 v11, 3, v118
	;; [unrolled: 1-line block ×3, first 2 shown]
	v_lshlrev_b32_sdwa v99, v15, v6 dst_sel:DWORD dst_unused:UNUSED_PAD src0_sel:DWORD src1_sel:WORD_0
	v_lshlrev_b32_sdwa v98, v15, v7 dst_sel:DWORD dst_unused:UNUSED_PAD src0_sel:DWORD src1_sel:WORD_0
	v_lshlrev_b32_sdwa v97, v15, v8 dst_sel:DWORD dst_unused:UNUSED_PAD src0_sel:DWORD src1_sel:WORD_0
	v_lshlrev_b32_sdwa v96, v15, v9 dst_sel:DWORD dst_unused:UNUSED_PAD src0_sel:DWORD src1_sel:WORD_0
	v_and_b32_e32 v6, 0xffff, v10
	v_and_b32_e32 v18, 0xffff, v11
	;; [unrolled: 1-line block ×3, first 2 shown]
	ds_read_b32 v89, v62 offset:13608
	ds_read2_b32 v[7:8], v83 offset0:8 offset1:251
	ds_read2_b32 v[9:10], v80 offset0:12 offset1:255
	;; [unrolled: 1-line block ×4, first 2 shown]
	ds_read2_b32 v[22:23], v62 offset1:243
	ds_read2_b32 v[26:27], v81 offset0:4 offset1:247
	ds_read2_b32 v[28:29], v84 offset0:6 offset1:249
	v_mul_u32_u24_sdwa v88, v91, v5 dst_sel:DWORD dst_unused:UNUSED_PAD src0_sel:WORD_0 src1_sel:DWORD
	v_add_co_u32 v5, s0, s2, v6
	v_add_co_ci_u32_e64 v6, null, s3, 0, s0
	v_add_co_u32 v24, s0, s2, v18
	v_add_lshl_u32 v100, v88, v92, 2
	v_lshlrev_b16 v13, 3, v120
	v_add_co_u32 v3, vcc_lo, s2, v3
	v_add_co_ci_u32_e32 v4, vcc_lo, s3, v4, vcc_lo
	s_waitcnt lgkmcnt(7)
	v_lshrrev_b32_e32 v18, 16, v89
	s_waitcnt lgkmcnt(6)
	v_lshrrev_b32_e32 v88, 16, v8
	;; [unrolled: 2-line block ×4, first 2 shown]
	v_lshrrev_b32_e32 v121, 16, v12
	s_waitcnt lgkmcnt(3)
	v_lshrrev_b32_e32 v122, 16, v16
	v_lshrrev_b32_e32 v125, 16, v17
	;; [unrolled: 1-line block ×3, first 2 shown]
	s_waitcnt lgkmcnt(1)
	v_lshrrev_b32_e32 v127, 16, v26
	v_lshrrev_b32_e32 v128, 16, v27
	;; [unrolled: 1-line block ×4, first 2 shown]
	s_waitcnt lgkmcnt(0)
	v_lshrrev_b32_e32 v130, 16, v28
	v_lshrrev_b32_e32 v90, 16, v9
	;; [unrolled: 1-line block ×3, first 2 shown]
	v_and_b32_e32 v13, 0xffff, v13
	v_add_co_ci_u32_e64 v25, null, s3, 0, s0
	v_add_co_u32 v30, s0, s2, v30
	v_add_co_ci_u32_e64 v31, null, s3, 0, s0
	s_waitcnt vmcnt(0)
	s_barrier
	buffer_gl0_inv
	v_cmp_gt_u16_e32 vcc_lo, 0xa2, v14
	v_lshlrev_b32_e32 v19, 3, v19
	v_mul_f16_sdwa v131, v18, v39 dst_sel:DWORD dst_unused:UNUSED_PAD src0_sel:DWORD src1_sel:WORD_1
	v_mul_f16_sdwa v134, v88, v38 dst_sel:DWORD dst_unused:UNUSED_PAD src0_sel:DWORD src1_sel:WORD_1
	;; [unrolled: 1-line block ×20, first 2 shown]
	v_fma_f16 v11, v11, v33, -v135
	v_fma_f16 v89, v89, v39, -v131
	v_fmac_f16_e32 v144, v91, v32
	v_fmac_f16_e32 v137, v92, v33
	v_fmac_f16_e32 v140, v121, v35
	v_fmac_f16_e32 v141, v122, v34
	v_fma_f16 v8, v8, v38, -v134
	v_fma_f16 v10, v10, v32, -v143
	;; [unrolled: 1-line block ×4, first 2 shown]
	v_fmac_f16_e32 v132, v18, v39
	v_fmac_f16_e32 v133, v88, v38
	v_fma_f16 v17, v17, v36, -v139
	v_fma_f16 v7, v7, v40, -v145
	;; [unrolled: 1-line block ×4, first 2 shown]
	v_fmac_f16_e32 v142, v125, v36
	v_fmac_f16_e32 v149, v127, v37
	;; [unrolled: 1-line block ×4, first 2 shown]
	v_add_f16_e32 v27, v8, v89
	v_add_f16_e32 v125, v141, v140
	v_add_f16_e32 v128, v10, v11
	v_add_f16_e32 v131, v22, v10
	v_add_f16_e32 v134, v124, v144
	v_add_f16_e32 v135, v144, v137
	v_add_f16_e32 v91, v133, v132
	v_add_f16_e32 v121, v16, v12
	v_add_f16_e32 v122, v23, v16
	v_add_f16_e32 v126, v123, v141
	v_sub_f16_e32 v127, v141, v140
	v_sub_f16_e32 v136, v144, v137
	v_add_f16_e32 v138, v7, v26
	v_add_f16_e32 v141, v146, v150
	v_add_f16_e32 v144, v130, v142
	v_add_f16_e32 v145, v28, v17
	v_add_f16_e32 v147, v142, v149
	v_add_f16_e32 v148, v17, v18
	v_add_f16_e32 v88, v9, v8
	v_sub_f16_e32 v16, v16, v12
	v_sub_f16_e32 v10, v10, v11
	v_fmac_f16_e32 v9, -0.5, v27
	v_fmac_f16_e32 v123, -0.5, v125
	v_add_f16_e32 v27, v134, v137
	v_add_f16_e32 v11, v131, v11
	v_fmac_f16_e32 v124, -0.5, v135
	v_fma_f16 v22, -0.5, v128, v22
	v_add_f16_e32 v92, v90, v133
	v_sub_f16_e32 v8, v8, v89
	v_fmac_f16_e32 v90, -0.5, v91
	v_fmac_f16_e32 v23, -0.5, v121
	v_add_f16_e32 v139, v29, v7
	v_add_f16_e32 v143, v129, v146
	v_sub_f16_e32 v142, v142, v149
	v_sub_f16_e32 v17, v17, v18
	;; [unrolled: 1-line block ×4, first 2 shown]
	v_add_f16_e32 v12, v122, v12
	v_add_f16_e32 v91, v126, v140
	v_fmac_f16_e32 v29, -0.5, v138
	v_fmac_f16_e32 v129, -0.5, v141
	v_add_f16_e32 v121, v144, v149
	v_add_f16_e32 v18, v145, v18
	v_fmac_f16_e32 v130, -0.5, v147
	v_fma_f16 v28, -0.5, v148, v28
	v_sub_f16_e32 v133, v133, v132
	v_fmamk_f16 v126, v16, 0xbaee, v123
	v_fmac_f16_e32 v123, 0x3aee, v16
	v_pack_b32_f16 v11, v11, v27
	v_fmamk_f16 v16, v136, 0x3aee, v22
	v_fmamk_f16 v27, v10, 0xbaee, v124
	v_fmac_f16_e32 v22, 0xbaee, v136
	v_fmac_f16_e32 v124, 0x3aee, v10
	v_fmamk_f16 v125, v8, 0xbaee, v90
	v_fmac_f16_e32 v90, 0x3aee, v8
	v_fmamk_f16 v8, v127, 0x3aee, v23
	v_fmac_f16_e32 v23, 0xbaee, v127
	v_add_f16_e32 v26, v139, v26
	v_add_f16_e32 v122, v143, v150
	;; [unrolled: 1-line block ×4, first 2 shown]
	v_pack_b32_f16 v10, v12, v91
	v_fmamk_f16 v12, v146, 0x3aee, v29
	v_fmac_f16_e32 v29, 0xbaee, v146
	v_fmamk_f16 v91, v7, 0xbaee, v129
	v_fmac_f16_e32 v129, 0x3aee, v7
	v_pack_b32_f16 v7, v18, v121
	v_fmamk_f16 v18, v142, 0x3aee, v28
	v_fmamk_f16 v121, v17, 0xbaee, v130
	;; [unrolled: 1-line block ×3, first 2 shown]
	v_fmac_f16_e32 v9, 0xbaee, v133
	v_fmac_f16_e32 v28, 0xbaee, v142
	;; [unrolled: 1-line block ×3, first 2 shown]
	v_pack_b32_f16 v16, v16, v27
	v_pack_b32_f16 v22, v22, v124
	;; [unrolled: 1-line block ×12, first 2 shown]
	ds_write2_b32 v100, v11, v16 offset1:45
	ds_write_b32 v100, v22 offset:360
	ds_write2_b32 v99, v10, v8 offset1:45
	ds_write_b32 v99, v23 offset:360
	ds_write2_b32 v98, v7, v18 offset1:45
	ds_write_b32 v98, v28 offset:360
	ds_write2_b32 v97, v17, v12 offset1:45
	ds_write_b32 v97, v27 offset:360
	ds_write2_b32 v96, v26, v29 offset1:45
	ds_write_b32 v96, v9 offset:360
	s_waitcnt lgkmcnt(0)
	s_barrier
	buffer_gl0_inv
	s_clause 0x2
	global_load_dwordx2 v[26:27], v[5:6], off offset:520
	global_load_dwordx2 v[22:23], v[3:4], off offset:520
	;; [unrolled: 1-line block ×3, first 2 shown]
	v_add_co_u32 v3, s0, s2, v13
	v_add_co_ci_u32_e64 v4, null, s3, 0, s0
	s_clause 0x1
	global_load_dwordx2 v[28:29], v[30:31], off offset:520
	global_load_dwordx2 v[30:31], v[3:4], off offset:520
	v_mov_b32_e32 v3, 0x43a3
	v_add_co_u32 v5, s0, 0xffffff5e, v78
	v_add_co_ci_u32_e64 v6, null, 0, -1, s0
	v_mul_u32_u24_sdwa v4, v86, v3 dst_sel:DWORD dst_unused:UNUSED_PAD src0_sel:WORD_0 src1_sel:DWORD
	v_mul_u32_u24_sdwa v3, v20, v3 dst_sel:DWORD dst_unused:UNUSED_PAD src0_sel:WORD_0 src1_sel:DWORD
	v_cndmask_b32_e32 v12, v5, v21, vcc_lo
	v_cndmask_b32_e32 v13, v6, v87, vcc_lo
	v_cmp_lt_u16_e32 vcc_lo, 0x86, v14
	v_lshrrev_b32_e32 v7, 16, v4
	v_lshrrev_b32_e32 v8, 16, v3
	v_lshlrev_b32_e32 v121, 3, v78
	v_lshlrev_b64 v[3:4], 3, v[12:13]
	v_cndmask_b32_e64 v9, 0, 0x195, vcc_lo
	v_sub_nc_u16 v5, v86, v7
	v_sub_nc_u16 v6, v20, v8
	v_add_co_u32 v17, s0, s2, v121
	v_add_lshl_u32 v90, v2, v9, 2
	v_lshrrev_b16 v5, 1, v5
	v_lshrrev_b16 v6, 1, v6
	v_add_co_ci_u32_e64 v18, null, s3, 0, s0
	v_lshlrev_b32_e32 v21, 3, v21
	v_add_nc_u16 v2, v5, v7
	v_add_nc_u16 v5, v6, v8
	v_add_co_u32 v8, vcc_lo, s2, v3
	v_add_co_ci_u32_e32 v9, vcc_lo, s3, v4, vcc_lo
	v_lshrrev_b16 v2, 8, v2
	v_lshrrev_b16 v13, 8, v5
	v_mad_u16 v3, 0x195, v95, v118
	v_mad_u16 v4, 0x195, v115, v119
	;; [unrolled: 1-line block ×3, first 2 shown]
	v_mul_lo_u16 v2, 0x195, v2
	v_mul_lo_u16 v6, 0x195, v13
	v_mad_u16 v95, 0x195, v93, v117
	v_lshlrev_b32_sdwa v93, v15, v3 dst_sel:DWORD dst_unused:UNUSED_PAD src0_sel:DWORD src1_sel:WORD_0
	v_lshlrev_b32_sdwa v92, v15, v4 dst_sel:DWORD dst_unused:UNUSED_PAD src0_sel:DWORD src1_sel:WORD_0
	;; [unrolled: 1-line block ×3, first 2 shown]
	v_sub_nc_u16 v16, v86, v2
	v_sub_nc_u16 v87, v20, v6
	ds_read_b32 v122, v62 offset:13608
	ds_read2_b32 v[2:3], v83 offset0:8 offset1:251
	ds_read2_b32 v[4:5], v80 offset0:12 offset1:255
	;; [unrolled: 1-line block ×4, first 2 shown]
	ds_read2_b32 v[88:89], v62 offset1:243
	v_lshlrev_b16 v115, 3, v16
	v_lshlrev_b16 v116, 3, v87
	v_lshlrev_b32_sdwa v95, v15, v95 dst_sel:DWORD dst_unused:UNUSED_PAD src0_sel:DWORD src1_sel:WORD_0
	v_lshlrev_b32_e32 v20, 3, v20
	v_and_b32_e32 v119, 0xffff, v115
	v_and_b32_e32 v123, 0xffff, v116
	ds_read2_b32 v[115:116], v81 offset0:4 offset1:247
	ds_read2_b32 v[117:118], v84 offset0:6 offset1:249
	s_waitcnt vmcnt(0) lgkmcnt(0)
	s_barrier
	v_add_co_u32 v119, s0, s2, v119
	v_add_co_ci_u32_e64 v120, null, s3, 0, s0
	buffer_gl0_inv
	v_lshrrev_b32_e32 v124, 16, v122
	v_lshrrev_b32_e32 v125, 16, v3
	;; [unrolled: 1-line block ×15, first 2 shown]
	v_mul_f16_sdwa v139, v124, v27 dst_sel:DWORD dst_unused:UNUSED_PAD src0_sel:DWORD src1_sel:WORD_1
	v_mul_f16_sdwa v142, v128, v23 dst_sel:DWORD dst_unused:UNUSED_PAD src0_sel:DWORD src1_sel:WORD_1
	;; [unrolled: 1-line block ×10, first 2 shown]
	v_fma_f16 v6, v6, v23, -v142
	v_mul_f16_sdwa v142, v127, v22 dst_sel:DWORD dst_unused:UNUSED_PAD src0_sel:DWORD src1_sel:WORD_1
	v_mul_f16_sdwa v140, v122, v27 dst_sel:DWORD dst_unused:UNUSED_PAD src0_sel:DWORD src1_sel:WORD_1
	;; [unrolled: 1-line block ×5, first 2 shown]
	v_fma_f16 v7, v7, v25, -v143
	v_mul_f16_sdwa v143, v135, v29 dst_sel:DWORD dst_unused:UNUSED_PAD src0_sel:DWORD src1_sel:WORD_1
	v_fma_f16 v10, v10, v24, -v146
	v_fma_f16 v11, v11, v28, -v147
	v_mul_f16_sdwa v147, v115, v29 dst_sel:DWORD dst_unused:UNUSED_PAD src0_sel:DWORD src1_sel:WORD_1
	v_fma_f16 v3, v3, v26, -v141
	v_mul_f16_sdwa v141, v116, v31 dst_sel:DWORD dst_unused:UNUSED_PAD src0_sel:DWORD src1_sel:WORD_1
	v_fma_f16 v122, v122, v27, -v139
	v_fmac_f16_e32 v153, v127, v22
	v_fmac_f16_e32 v145, v129, v25
	;; [unrolled: 1-line block ×3, first 2 shown]
	v_fma_f16 v5, v5, v22, -v142
	v_mul_f16_sdwa v149, v134, v30 dst_sel:DWORD dst_unused:UNUSED_PAD src0_sel:DWORD src1_sel:WORD_1
	v_mul_f16_sdwa v146, v136, v31 dst_sel:DWORD dst_unused:UNUSED_PAD src0_sel:DWORD src1_sel:WORD_1
	v_fmac_f16_e32 v144, v128, v23
	v_fmac_f16_e32 v140, v124, v27
	;; [unrolled: 1-line block ×3, first 2 shown]
	v_fma_f16 v115, v115, v29, -v143
	v_fmac_f16_e32 v150, v133, v28
	v_fmac_f16_e32 v147, v135, v29
	;; [unrolled: 1-line block ×4, first 2 shown]
	v_add_f16_e32 v124, v3, v122
	v_add_f16_e32 v129, v10, v7
	;; [unrolled: 1-line block ×5, first 2 shown]
	v_fma_f16 v2, v2, v30, -v149
	v_fma_f16 v116, v116, v31, -v146
	v_add_f16_e32 v136, v153, v144
	v_add_f16_e32 v143, v5, v6
	;; [unrolled: 1-line block ×6, first 2 shown]
	v_sub_f16_e32 v139, v153, v144
	v_sub_f16_e32 v5, v5, v6
	v_fmac_f16_e32 v4, -0.5, v124
	v_add_f16_e32 v124, v152, v141
	v_fmac_f16_e32 v89, -0.5, v129
	v_add_f16_e32 v129, v138, v150
	;; [unrolled: 2-line block ×3, first 2 shown]
	v_add_f16_e32 v134, v134, v144
	v_add_f16_e32 v144, v117, v11
	;; [unrolled: 1-line block ×4, first 2 shown]
	v_sub_f16_e32 v10, v10, v7
	v_sub_f16_e32 v146, v148, v145
	v_add_f16_e32 v148, v2, v116
	v_fmac_f16_e32 v132, -0.5, v136
	v_fma_f16 v88, -0.5, v143, v88
	v_add_f16_e32 v128, v126, v151
	v_fmac_f16_e32 v126, -0.5, v127
	v_sub_f16_e32 v3, v3, v122
	v_add_f16_e32 v149, v118, v2
	v_add_f16_e32 v127, v137, v152
	v_sub_f16_e32 v150, v150, v147
	v_sub_f16_e32 v11, v11, v115
	;; [unrolled: 1-line block ×3, first 2 shown]
	v_add_f16_e32 v7, v130, v7
	v_add_f16_e32 v130, v135, v145
	v_fmac_f16_e32 v137, -0.5, v124
	v_add_f16_e32 v124, v129, v147
	v_add_f16_e32 v115, v144, v115
	v_fmac_f16_e32 v138, -0.5, v133
	v_fma_f16 v117, -0.5, v142, v117
	v_sub_f16_e32 v152, v152, v141
	v_sub_f16_e32 v151, v151, v140
	v_fmac_f16_e32 v118, -0.5, v148
	v_fmamk_f16 v133, v10, 0xbaee, v131
	v_fmac_f16_e32 v131, 0x3aee, v10
	v_pack_b32_f16 v6, v6, v134
	v_fmamk_f16 v10, v139, 0x3aee, v88
	v_fmamk_f16 v134, v5, 0xbaee, v132
	v_fmac_f16_e32 v88, 0xbaee, v139
	v_fmac_f16_e32 v132, 0x3aee, v5
	v_fmamk_f16 v129, v3, 0xbaee, v126
	v_fmac_f16_e32 v126, 0x3aee, v3
	v_fmamk_f16 v3, v146, 0x3aee, v89
	v_fmac_f16_e32 v89, 0xbaee, v146
	v_pack_b32_f16 v5, v7, v130
	v_fmamk_f16 v130, v2, 0xbaee, v137
	v_fmac_f16_e32 v137, 0x3aee, v2
	v_pack_b32_f16 v2, v115, v124
	v_fmamk_f16 v115, v150, 0x3aee, v117
	v_fmamk_f16 v124, v11, 0xbaee, v138
	v_add_f16_e32 v116, v149, v116
	v_add_f16_e32 v127, v127, v141
	;; [unrolled: 1-line block ×4, first 2 shown]
	v_fmamk_f16 v128, v151, 0x3aee, v4
	v_fmac_f16_e32 v4, 0xbaee, v151
	v_fmamk_f16 v7, v152, 0x3aee, v118
	v_fmac_f16_e32 v118, 0xbaee, v152
	v_fmac_f16_e32 v117, 0xbaee, v150
	;; [unrolled: 1-line block ×3, first 2 shown]
	v_pack_b32_f16 v10, v10, v134
	v_pack_b32_f16 v88, v88, v132
	v_pack_b32_f16 v3, v3, v133
	v_pack_b32_f16 v89, v89, v131
	v_pack_b32_f16 v115, v115, v124
	v_pack_b32_f16 v11, v116, v127
	v_pack_b32_f16 v116, v122, v125
	v_pack_b32_f16 v4, v4, v126
	v_pack_b32_f16 v118, v118, v137
	v_pack_b32_f16 v117, v117, v138
	v_pack_b32_f16 v7, v7, v130
	v_pack_b32_f16 v122, v128, v129
	ds_write2_b32 v90, v6, v10 offset1:135
	ds_write_b32 v90, v88 offset:1080
	ds_write2_b32 v93, v5, v3 offset1:135
	ds_write_b32 v93, v89 offset:1080
	;; [unrolled: 2-line block ×5, first 2 shown]
	v_add_co_u32 v10, vcc_lo, 0x800, v17
	v_add_co_u32 v88, s0, s2, v123
	s_waitcnt lgkmcnt(0)
	s_barrier
	buffer_gl0_inv
	global_load_dwordx2 v[6:7], v[119:120], off offset:1600
	v_add_co_ci_u32_e32 v11, vcc_lo, 0, v18, vcc_lo
	s_clause 0x1
	global_load_dwordx2 v[2:3], v121, s[2:3] offset:1600
	global_load_dwordx2 v[4:5], v[8:9], off offset:1600
	v_add_co_ci_u32_e64 v89, null, s3, 0, s0
	s_clause 0x1
	global_load_dwordx2 v[8:9], v[10:11], off offset:200
	global_load_dwordx2 v[10:11], v[88:89], off offset:1600
	v_cmp_lt_u16_e32 vcc_lo, 0xa1, v14
	v_lshlrev_b32_e32 v88, 3, v86
	v_cndmask_b32_e64 v14, 0, 0x4bf, vcc_lo
	v_add_co_u32 v17, vcc_lo, 0x1000, v17
	v_add_co_ci_u32_e32 v18, vcc_lo, 0, v18, vcc_lo
	v_add_lshl_u32 v86, v12, v14, 2
	v_add_co_u32 v12, s0, s2, v88
	v_add_co_ci_u32_e64 v14, null, s3, 0, s0
	v_add_co_u32 v21, s0, s2, v21
	v_add_co_ci_u32_e64 v88, null, s3, 0, s0
	v_add_co_u32 v89, s0, s2, v19
	v_add_co_ci_u32_e64 v129, null, s3, 0, s0
	v_add_co_u32 v130, s0, s2, v20
	ds_read_b32 v132, v62 offset:13608
	ds_read2_b32 v[19:20], v83 offset0:8 offset1:251
	ds_read2_b32 v[115:116], v80 offset0:12 offset1:255
	ds_read2_b32 v[117:118], v79 offset0:6 offset1:249
	ds_read2_b32 v[121:122], v82 offset0:2 offset1:245
	v_add_co_u32 v119, vcc_lo, 0x1000, v12
	v_add_co_ci_u32_e32 v120, vcc_lo, 0, v14, vcc_lo
	v_mad_u16 v14, 0x4bf, v13, v87
	ds_read2_b32 v[12:13], v81 offset0:4 offset1:247
	ds_read2_b32 v[123:124], v62 offset1:243
	ds_read2_b32 v[125:126], v84 offset0:6 offset1:249
	v_add_co_u32 v127, vcc_lo, 0x1000, v21
	v_add_co_ci_u32_e32 v128, vcc_lo, 0, v88, vcc_lo
	v_lshlrev_b32_sdwa v87, v15, v16 dst_sel:DWORD dst_unused:UNUSED_PAD src0_sel:DWORD src1_sel:WORD_0
	v_lshlrev_b32_sdwa v88, v15, v14 dst_sel:DWORD dst_unused:UNUSED_PAD src0_sel:DWORD src1_sel:WORD_0
	s_waitcnt vmcnt(0) lgkmcnt(0)
	s_barrier
	buffer_gl0_inv
	v_lshrrev_b32_e32 v14, 16, v132
	v_lshrrev_b32_e32 v15, 16, v20
	;; [unrolled: 1-line block ×15, first 2 shown]
	v_add_co_ci_u32_e64 v131, null, s3, 0, s0
	s_load_dwordx2 s[0:1], s[4:5], 0x38
	s_mul_i32 s2, s25, 0xb64
	s_add_i32 s28, s28, s2
	v_mul_f16_sdwa v145, v15, v6 dst_sel:DWORD dst_unused:UNUSED_PAD src0_sel:DWORD src1_sel:WORD_1
	v_mul_f16_sdwa v147, v20, v6 dst_sel:DWORD dst_unused:UNUSED_PAD src0_sel:DWORD src1_sel:WORD_1
	;; [unrolled: 1-line block ×8, first 2 shown]
	v_fma_f16 v118, v118, v5, -v150
	v_mul_f16_sdwa v150, v137, v10 dst_sel:DWORD dst_unused:UNUSED_PAD src0_sel:DWORD src1_sel:WORD_1
	v_mul_f16_sdwa v148, v21, v2 dst_sel:DWORD dst_unused:UNUSED_PAD src0_sel:DWORD src1_sel:WORD_1
	;; [unrolled: 1-line block ×4, first 2 shown]
	v_fma_f16 v117, v117, v3, -v149
	v_mul_f16_sdwa v149, v121, v4 dst_sel:DWORD dst_unused:UNUSED_PAD src0_sel:DWORD src1_sel:WORD_1
	v_fma_f16 v121, v121, v4, -v153
	v_fma_f16 v20, v20, v6, -v145
	;; [unrolled: 1-line block ×3, first 2 shown]
	v_mul_f16_sdwa v19, v19, v10 dst_sel:DWORD dst_unused:UNUSED_PAD src0_sel:DWORD src1_sel:WORD_1
	v_fmac_f16_e32 v147, v15, v6
	v_mul_f16_sdwa v15, v13, v11 dst_sel:DWORD dst_unused:UNUSED_PAD src0_sel:DWORD src1_sel:WORD_1
	v_fma_f16 v153, v122, v8, -v154
	v_mul_f16_sdwa v122, v122, v8 dst_sel:DWORD dst_unused:UNUSED_PAD src0_sel:DWORD src1_sel:WORD_1
	v_mul_f16_sdwa v154, v116, v2 dst_sel:DWORD dst_unused:UNUSED_PAD src0_sel:DWORD src1_sel:WORD_1
	v_fma_f16 v132, v132, v7, -v144
	v_mul_f16_sdwa v144, v139, v11 dst_sel:DWORD dst_unused:UNUSED_PAD src0_sel:DWORD src1_sel:WORD_1
	v_fmac_f16_e32 v146, v14, v7
	v_mul_f16_sdwa v14, v12, v9 dst_sel:DWORD dst_unused:UNUSED_PAD src0_sel:DWORD src1_sel:WORD_1
	v_fma_f16 v116, v116, v2, -v148
	v_fmac_f16_e32 v149, v135, v4
	v_fmac_f16_e32 v152, v134, v5
	;; [unrolled: 1-line block ×4, first 2 shown]
	v_add_f16_e32 v137, v121, v118
	v_mul_f16_sdwa v150, v138, v9 dst_sel:DWORD dst_unused:UNUSED_PAD src0_sel:DWORD src1_sel:WORD_1
	v_fma_f16 v13, v13, v11, -v144
	v_fmac_f16_e32 v154, v21, v2
	v_fmac_f16_e32 v151, v133, v3
	;; [unrolled: 1-line block ×4, first 2 shown]
	v_add_f16_e32 v21, v20, v132
	v_add_f16_e32 v134, v147, v146
	;; [unrolled: 1-line block ×3, first 2 shown]
	v_sub_f16_e32 v136, v147, v146
	v_add_f16_e32 v138, v124, v121
	v_add_f16_e32 v139, v149, v152
	;; [unrolled: 1-line block ×3, first 2 shown]
	v_sub_f16_e32 v147, v149, v152
	v_add_f16_e32 v149, v123, v116
	v_fmac_f16_e32 v124, -0.5, v137
	v_add_f16_e32 v137, v19, v15
	v_fma_f16 v12, v12, v9, -v150
	v_add_f16_e32 v133, v115, v20
	v_add_f16_e32 v148, v116, v117
	v_fmac_f16_e32 v115, -0.5, v21
	v_add_f16_e32 v21, v145, v13
	v_fmac_f16_e32 v140, -0.5, v139
	;; [unrolled: 2-line block ×3, first 2 shown]
	v_add_f16_e32 v137, v141, v154
	v_sub_f16_e32 v116, v116, v117
	v_add_f16_e32 v117, v149, v117
	v_add_f16_e32 v149, v154, v151
	v_sub_f16_e32 v121, v121, v118
	v_fmac_f16_e32 v16, -0.5, v134
	v_add_f16_e32 v134, v126, v145
	v_fmac_f16_e32 v126, -0.5, v21
	v_add_f16_e32 v21, v153, v12
	v_sub_f16_e32 v150, v154, v151
	v_add_f16_e32 v137, v137, v151
	v_fmac_f16_e32 v141, -0.5, v149
	v_add_f16_e32 v118, v138, v118
	v_add_f16_e32 v138, v122, v14
	v_fma_f16 v123, -0.5, v148, v123
	v_sub_f16_e32 v20, v20, v132
	v_sub_f16_e32 v19, v19, v15
	;; [unrolled: 1-line block ×3, first 2 shown]
	v_add_f16_e32 v151, v125, v153
	v_sub_f16_e32 v153, v153, v12
	v_add_f16_e32 v149, v143, v122
	v_sub_f16_e32 v122, v122, v14
	v_fma_f16 v21, -0.5, v21, v125
	v_fmac_f16_e32 v143, -0.5, v138
	v_add_f16_e32 v15, v139, v15
	v_fmamk_f16 v138, v150, 0x3aee, v123
	v_fmamk_f16 v139, v116, 0xbaee, v141
	v_pack_b32_f16 v117, v117, v137
	v_fmac_f16_e32 v123, 0xbaee, v150
	v_fmac_f16_e32 v141, 0x3aee, v116
	v_add_f16_e32 v125, v144, v152
	v_add_f16_e32 v13, v134, v13
	;; [unrolled: 1-line block ×4, first 2 shown]
	v_fmamk_f16 v134, v136, 0x3aee, v115
	v_fmac_f16_e32 v115, 0xbaee, v136
	v_fmamk_f16 v135, v20, 0xbaee, v16
	v_fmac_f16_e32 v16, 0x3aee, v20
	v_fmamk_f16 v20, v147, 0x3aee, v124
	v_fmamk_f16 v136, v121, 0xbaee, v140
	v_fmac_f16_e32 v124, 0xbaee, v147
	v_fmac_f16_e32 v140, 0x3aee, v121
	v_fmamk_f16 v121, v19, 0x3aee, v126
	v_fmac_f16_e32 v126, 0xbaee, v19
	v_fmamk_f16 v19, v145, 0xbaee, v142
	v_add_f16_e32 v12, v151, v12
	v_add_f16_e32 v14, v149, v14
	v_fmac_f16_e32 v142, 0x3aee, v145
	v_fmamk_f16 v116, v122, 0x3aee, v21
	v_fmac_f16_e32 v21, 0xbaee, v122
	v_fmamk_f16 v122, v153, 0xbaee, v143
	v_fmac_f16_e32 v143, 0x3aee, v153
	ds_write_b32 v62, v117
	v_pack_b32_f16 v117, v138, v139
	v_pack_b32_f16 v123, v123, v141
	;; [unrolled: 1-line block ×14, first 2 shown]
	ds_write_b32 v62, v117 offset:1620
	ds_write_b32 v62, v123 offset:3240
	ds_write_b32 v86, v118
	ds_write_b32 v86, v20 offset:1620
	ds_write_b32 v86, v16 offset:3240
	;; [unrolled: 1-line block ×5, first 2 shown]
	ds_write_b32 v88, v13
	ds_write_b32 v88, v19 offset:1620
	ds_write_b32 v88, v115 offset:3240
	;; [unrolled: 1-line block ×5, first 2 shown]
	v_add_co_u32 v19, vcc_lo, 0x1000, v89
	v_add_co_ci_u32_e32 v20, vcc_lo, 0, v129, vcc_lo
	v_add_co_u32 v115, vcc_lo, 0x1000, v130
	v_add_co_ci_u32_e32 v116, vcc_lo, 0, v131, vcc_lo
	s_waitcnt lgkmcnt(0)
	s_barrier
	buffer_gl0_inv
	s_clause 0x4
	global_load_dwordx2 v[14:15], v[119:120], off offset:744
	global_load_dwordx2 v[12:13], v[17:18], off offset:744
	;; [unrolled: 1-line block ×5, first 2 shown]
	ds_read_b32 v129, v62 offset:13608
	ds_read2_b32 v[115:116], v83 offset0:8 offset1:251
	ds_read2_b32 v[117:118], v80 offset0:12 offset1:255
	;; [unrolled: 1-line block ×5, first 2 shown]
	ds_read2_b32 v[125:126], v62 offset1:243
	ds_read2_b32 v[127:128], v84 offset0:6 offset1:249
	v_add_nc_u32_e32 v89, 0x29c0, v62
	s_waitcnt lgkmcnt(7)
	v_lshrrev_b32_e32 v130, 16, v129
	s_waitcnt lgkmcnt(6)
	v_lshrrev_b32_e32 v138, 16, v115
	v_lshrrev_b32_e32 v131, 16, v116
	s_waitcnt lgkmcnt(4)
	v_lshrrev_b32_e32 v134, 16, v119
	;; [unrolled: 3-line block ×4, first 2 shown]
	v_lshrrev_b32_e32 v140, 16, v124
	v_lshrrev_b32_e32 v133, 16, v118
	;; [unrolled: 1-line block ×3, first 2 shown]
	s_waitcnt lgkmcnt(1)
	v_lshrrev_b32_e32 v141, 16, v126
	v_lshrrev_b32_e32 v142, 16, v125
	s_waitcnt lgkmcnt(0)
	v_lshrrev_b32_e32 v143, 16, v128
	s_waitcnt vmcnt(3)
	v_mul_f16_sdwa v148, v134, v13 dst_sel:DWORD dst_unused:UNUSED_PAD src0_sel:DWORD src1_sel:WORD_1
	s_waitcnt vmcnt(2)
	v_mul_f16_sdwa v149, v135, v17 dst_sel:DWORD dst_unused:UNUSED_PAD src0_sel:DWORD src1_sel:WORD_1
	v_mul_f16_sdwa v152, v136, v16 dst_sel:DWORD dst_unused:UNUSED_PAD src0_sel:DWORD src1_sel:WORD_1
	s_waitcnt vmcnt(1)
	v_mul_f16_sdwa v153, v137, v18 dst_sel:DWORD dst_unused:UNUSED_PAD src0_sel:DWORD src1_sel:WORD_1
	v_mul_f16_sdwa v144, v130, v15 dst_sel:DWORD dst_unused:UNUSED_PAD src0_sel:DWORD src1_sel:WORD_1
	;; [unrolled: 1-line block ×7, first 2 shown]
	v_fma_f16 v119, v119, v13, -v148
	v_fma_f16 v120, v120, v17, -v149
	v_mul_f16_sdwa v148, v122, v18 dst_sel:DWORD dst_unused:UNUSED_PAD src0_sel:DWORD src1_sel:WORD_1
	s_waitcnt vmcnt(0)
	v_mul_f16_sdwa v149, v138, v20 dst_sel:DWORD dst_unused:UNUSED_PAD src0_sel:DWORD src1_sel:WORD_1
	v_fma_f16 v121, v121, v16, -v152
	v_fma_f16 v122, v122, v18, -v153
	v_mul_f16_sdwa v152, v139, v19 dst_sel:DWORD dst_unused:UNUSED_PAD src0_sel:DWORD src1_sel:WORD_1
	v_mul_f16_sdwa v153, v140, v21 dst_sel:DWORD dst_unused:UNUSED_PAD src0_sel:DWORD src1_sel:WORD_1
	v_mul_f16_sdwa v145, v131, v14 dst_sel:DWORD dst_unused:UNUSED_PAD src0_sel:DWORD src1_sel:WORD_1
	v_fma_f16 v149, v115, v20, -v149
	v_mul_f16_sdwa v155, v115, v20 dst_sel:DWORD dst_unused:UNUSED_PAD src0_sel:DWORD src1_sel:WORD_1
	v_mul_f16_sdwa v156, v123, v19 dst_sel:DWORD dst_unused:UNUSED_PAD src0_sel:DWORD src1_sel:WORD_1
	v_fma_f16 v115, v123, v19, -v152
	v_fma_f16 v123, v124, v21, -v153
	v_mul_f16_sdwa v124, v124, v21 dst_sel:DWORD dst_unused:UNUSED_PAD src0_sel:DWORD src1_sel:WORD_1
	v_fma_f16 v129, v129, v15, -v144
	v_mul_f16_sdwa v144, v118, v12 dst_sel:DWORD dst_unused:UNUSED_PAD src0_sel:DWORD src1_sel:WORD_1
	v_fmac_f16_e32 v146, v130, v15
	v_fmac_f16_e32 v147, v131, v14
	v_fma_f16 v145, v116, v14, -v145
	v_mul_f16_sdwa v116, v133, v12 dst_sel:DWORD dst_unused:UNUSED_PAD src0_sel:DWORD src1_sel:WORD_1
	v_fmac_f16_e32 v144, v133, v12
	v_fmac_f16_e32 v151, v135, v17
	;; [unrolled: 1-line block ×5, first 2 shown]
	v_add_f16_e32 v133, v147, v146
	v_add_f16_e32 v135, v121, v120
	v_fma_f16 v116, v118, v12, -v116
	v_fmac_f16_e32 v150, v134, v13
	v_fmac_f16_e32 v148, v137, v18
	v_add_f16_e32 v118, v145, v129
	v_add_f16_e32 v134, v132, v147
	;; [unrolled: 1-line block ×4, first 2 shown]
	v_fmac_f16_e32 v132, -0.5, v133
	v_add_f16_e32 v133, v149, v123
	v_fmac_f16_e32 v126, -0.5, v135
	v_add_f16_e32 v135, v155, v124
	v_fmac_f16_e32 v156, v139, v19
	v_add_f16_e32 v131, v117, v145
	v_add_f16_e32 v138, v141, v154
	;; [unrolled: 1-line block ×3, first 2 shown]
	v_fmac_f16_e32 v117, -0.5, v118
	v_add_f16_e32 v118, v125, v116
	v_fmac_f16_e32 v141, -0.5, v137
	v_add_f16_e32 v137, v128, v149
	v_fmac_f16_e32 v128, -0.5, v133
	v_add_f16_e32 v133, v143, v155
	v_fmac_f16_e32 v143, -0.5, v135
	v_add_f16_e32 v135, v144, v150
	v_sub_f16_e32 v152, v116, v119
	v_add_f16_e32 v116, v142, v144
	v_lshrrev_b32_e32 v130, 16, v127
	v_add_f16_e32 v118, v118, v119
	v_sub_f16_e32 v119, v121, v120
	v_fmac_f16_e32 v142, -0.5, v135
	v_add_f16_e32 v121, v122, v115
	v_sub_f16_e32 v135, v144, v150
	v_add_f16_e32 v144, v116, v150
	v_add_f16_e32 v116, v148, v156
	v_sub_f16_e32 v139, v154, v151
	v_add_f16_e32 v120, v136, v120
	v_add_f16_e32 v136, v127, v122
	;; [unrolled: 1-line block ×4, first 2 shown]
	v_sub_f16_e32 v145, v145, v129
	v_sub_f16_e32 v151, v155, v124
	;; [unrolled: 1-line block ×3, first 2 shown]
	v_fma_f16 v125, -0.5, v140, v125
	v_sub_f16_e32 v122, v122, v115
	v_fmac_f16_e32 v130, -0.5, v116
	v_sub_f16_e32 v148, v148, v156
	v_fma_f16 v121, -0.5, v121, v127
	v_add_f16_e32 v136, v136, v115
	v_sub_f16_e32 v147, v147, v146
	v_add_f16_e32 v127, v150, v156
	v_add_f16_e32 v123, v137, v123
	;; [unrolled: 1-line block ×4, first 2 shown]
	v_fmamk_f16 v134, v145, 0xbaee, v132
	v_fmac_f16_e32 v132, 0x3aee, v145
	v_fmamk_f16 v137, v139, 0x3aee, v126
	v_fmac_f16_e32 v126, 0xbaee, v139
	;; [unrolled: 2-line block ×7, first 2 shown]
	v_add_co_u32 v115, vcc_lo, 0x3800, v0
	v_add_f16_e32 v124, v133, v124
	v_pack_b32_f16 v118, v118, v144
	v_pack_b32_f16 v120, v120, v138
	v_fmamk_f16 v138, v148, 0x3aee, v121
	v_fmamk_f16 v144, v122, 0xbaee, v130
	v_fmac_f16_e32 v121, 0xbaee, v148
	v_fmac_f16_e32 v130, 0x3aee, v122
	v_add_co_ci_u32_e32 v116, vcc_lo, 0, v85, vcc_lo
	v_fmamk_f16 v133, v147, 0x3aee, v117
	v_fmac_f16_e32 v117, 0xbaee, v147
	v_pack_b32_f16 v122, v136, v127
	v_pack_b32_f16 v127, v128, v143
	;; [unrolled: 1-line block ×13, first 2 shown]
	ds_write_b32 v62, v128 offset:4860
	ds_write_b32 v62, v125 offset:9720
	ds_write2_b32 v62, v118, v120 offset1:243
	ds_write2_b32 v82, v129, v131 offset0:2 offset1:245
	ds_write2_b32 v89, v126, v121 offset0:1 offset1:244
	;; [unrolled: 1-line block ×3, first 2 shown]
	ds_write_b32 v62, v127 offset:12636
	ds_write_b32 v62, v124 offset:3888
	ds_write2_b32 v83, v119, v130 offset0:8 offset1:251
	ds_write_b32 v62, v117 offset:13608
	s_waitcnt lgkmcnt(0)
	s_barrier
	buffer_gl0_inv
	global_load_dword v125, v[115:116], off offset:244
	v_add_co_u32 v115, vcc_lo, 0x38f4, v0
	v_add_co_ci_u32_e32 v116, vcc_lo, 0, v85, vcc_lo
	v_add_co_u32 v117, vcc_lo, 0x6800, v0
	v_add_co_ci_u32_e32 v118, vcc_lo, 0, v85, vcc_lo
	s_clause 0x1
	global_load_dword v126, v[115:116], off offset:972
	global_load_dword v127, v[117:118], off offset:1564
	v_add_co_u32 v119, vcc_lo, 0x4000, v0
	v_add_co_ci_u32_e32 v120, vcc_lo, 0, v85, vcc_lo
	v_add_co_u32 v121, vcc_lo, 0x4800, v0
	v_add_co_ci_u32_e32 v122, vcc_lo, 0, v85, vcc_lo
	;; [unrolled: 2-line block ×3, first 2 shown]
	s_clause 0x5
	global_load_dword v128, v[119:120], off offset:1112
	global_load_dword v129, v[121:122], off offset:36
	;; [unrolled: 1-line block ×6, first 2 shown]
	v_add_co_u32 v115, vcc_lo, 0x5000, v0
	v_add_co_ci_u32_e32 v116, vcc_lo, 0, v85, vcc_lo
	s_clause 0x1
	global_load_dword v134, v[115:116], off offset:904
	global_load_dword v135, v[115:116], off offset:1876
	v_add_co_u32 v115, vcc_lo, 0x6000, v0
	v_add_co_ci_u32_e32 v116, vcc_lo, 0, v85, vcc_lo
	s_clause 0x3
	global_load_dword v0, v[117:118], off offset:592
	global_load_dword v85, v[115:116], off offset:1668
	;; [unrolled: 1-line block ×4, first 2 shown]
	ds_read2_b32 v[115:116], v62 offset1:243
	ds_read_b32 v121, v62 offset:13608
	v_add_nc_u32_e32 v138, 0xb40, v62
	v_add_nc_u32_e32 v141, 0x3c0, v62
	v_add_nc_u32_e32 v142, 0x12e0, v62
	s_waitcnt lgkmcnt(1)
	v_lshrrev_b32_e32 v117, 16, v115
	v_lshrrev_b32_e32 v122, 16, v116
	s_waitcnt lgkmcnt(0)
	v_lshrrev_b32_e32 v123, 16, v121
	s_waitcnt vmcnt(14)
	v_mul_f16_sdwa v118, v115, v125 dst_sel:DWORD dst_unused:UNUSED_PAD src0_sel:DWORD src1_sel:WORD_1
	v_mul_f16_sdwa v119, v117, v125 dst_sel:DWORD dst_unused:UNUSED_PAD src0_sel:DWORD src1_sel:WORD_1
	v_fmac_f16_e32 v118, v117, v125
	v_fma_f16 v115, v115, v125, -v119
	s_waitcnt vmcnt(13)
	v_mul_f16_sdwa v124, v116, v126 dst_sel:DWORD dst_unused:UNUSED_PAD src0_sel:DWORD src1_sel:WORD_1
	v_pack_b32_f16 v115, v115, v118
	s_waitcnt vmcnt(12)
	v_mul_f16_sdwa v125, v123, v127 dst_sel:DWORD dst_unused:UNUSED_PAD src0_sel:DWORD src1_sel:WORD_1
	v_mul_f16_sdwa v139, v121, v127 dst_sel:DWORD dst_unused:UNUSED_PAD src0_sel:DWORD src1_sel:WORD_1
	v_fmac_f16_e32 v124, v122, v126
	ds_write_b32 v62, v115
	ds_read2_b32 v[117:118], v84 offset0:6 offset1:249
	v_mul_f16_sdwa v115, v122, v126 dst_sel:DWORD dst_unused:UNUSED_PAD src0_sel:DWORD src1_sel:WORD_1
	ds_read2_b32 v[119:120], v80 offset0:12 offset1:255
	v_fma_f16 v121, v121, v127, -v125
	v_fmac_f16_e32 v139, v123, v127
	v_add_nc_u32_e32 v127, 0x2200, v62
	v_fma_f16 v140, v116, v126, -v115
	ds_read2_b32 v[115:116], v82 offset0:2 offset1:245
	v_pack_b32_f16 v139, v121, v139
	v_pack_b32_f16 v140, v140, v124
	ds_read2_b32 v[121:122], v83 offset0:8 offset1:251
	ds_read2_b32 v[123:124], v81 offset0:4 offset1:247
	;; [unrolled: 1-line block ×3, first 2 shown]
	s_waitcnt lgkmcnt(5)
	v_lshrrev_b32_e32 v143, 16, v118
	s_waitcnt vmcnt(11)
	v_mul_f16_sdwa v144, v118, v128 dst_sel:DWORD dst_unused:UNUSED_PAD src0_sel:DWORD src1_sel:WORD_1
	v_lshrrev_b32_e32 v145, 16, v117
	s_waitcnt vmcnt(6)
	v_mul_f16_sdwa v146, v117, v133 dst_sel:DWORD dst_unused:UNUSED_PAD src0_sel:DWORD src1_sel:WORD_1
	s_waitcnt lgkmcnt(4)
	v_lshrrev_b32_e32 v147, 16, v119
	v_mul_f16_sdwa v148, v119, v129 dst_sel:DWORD dst_unused:UNUSED_PAD src0_sel:DWORD src1_sel:WORD_1
	v_lshrrev_b32_e32 v149, 16, v120
	v_mul_f16_sdwa v150, v120, v130 dst_sel:DWORD dst_unused:UNUSED_PAD src0_sel:DWORD src1_sel:WORD_1
	s_waitcnt lgkmcnt(3)
	v_lshrrev_b32_e32 v151, 16, v115
	v_mul_f16_sdwa v152, v143, v128 dst_sel:DWORD dst_unused:UNUSED_PAD src0_sel:DWORD src1_sel:WORD_1
	v_mul_f16_sdwa v154, v145, v133 dst_sel:DWORD dst_unused:UNUSED_PAD src0_sel:DWORD src1_sel:WORD_1
	v_fmac_f16_e32 v144, v143, v128
	v_lshrrev_b32_e32 v143, 16, v116
	v_fmac_f16_e32 v146, v145, v133
	v_mul_f16_sdwa v145, v147, v129 dst_sel:DWORD dst_unused:UNUSED_PAD src0_sel:DWORD src1_sel:WORD_1
	v_fmac_f16_e32 v148, v147, v129
	v_mul_f16_sdwa v147, v149, v130 dst_sel:DWORD dst_unused:UNUSED_PAD src0_sel:DWORD src1_sel:WORD_1
	v_mul_f16_sdwa v153, v115, v131 dst_sel:DWORD dst_unused:UNUSED_PAD src0_sel:DWORD src1_sel:WORD_1
	v_fmac_f16_e32 v150, v149, v130
	v_fma_f16 v118, v118, v128, -v152
	s_waitcnt vmcnt(5)
	v_mul_f16_sdwa v128, v116, v134 dst_sel:DWORD dst_unused:UNUSED_PAD src0_sel:DWORD src1_sel:WORD_1
	v_fma_f16 v120, v120, v130, -v147
	v_mul_f16_sdwa v130, v151, v131 dst_sel:DWORD dst_unused:UNUSED_PAD src0_sel:DWORD src1_sel:WORD_1
	v_mul_f16_sdwa v147, v143, v134 dst_sel:DWORD dst_unused:UNUSED_PAD src0_sel:DWORD src1_sel:WORD_1
	v_fma_f16 v117, v117, v133, -v154
	s_waitcnt lgkmcnt(2)
	v_lshrrev_b32_e32 v152, 16, v122
	v_mul_f16_sdwa v154, v122, v132 dst_sel:DWORD dst_unused:UNUSED_PAD src0_sel:DWORD src1_sel:WORD_1
	v_fmac_f16_e32 v153, v151, v131
	s_waitcnt lgkmcnt(1)
	v_lshrrev_b32_e32 v151, 16, v123
	v_fma_f16 v115, v115, v131, -v130
	s_waitcnt vmcnt(2)
	v_mul_f16_sdwa v130, v123, v85 dst_sel:DWORD dst_unused:UNUSED_PAD src0_sel:DWORD src1_sel:WORD_1
	v_fma_f16 v116, v116, v134, -v147
	s_waitcnt lgkmcnt(0)
	v_lshrrev_b32_e32 v131, 16, v125
	s_waitcnt vmcnt(1)
	v_mul_f16_sdwa v147, v125, v136 dst_sel:DWORD dst_unused:UNUSED_PAD src0_sel:DWORD src1_sel:WORD_1
	v_lshrrev_b32_e32 v133, 16, v121
	v_mul_f16_sdwa v149, v121, v135 dst_sel:DWORD dst_unused:UNUSED_PAD src0_sel:DWORD src1_sel:WORD_1
	v_fma_f16 v119, v119, v129, -v145
	v_lshrrev_b32_e32 v129, 16, v124
	v_mul_f16_sdwa v145, v124, v0 dst_sel:DWORD dst_unused:UNUSED_PAD src0_sel:DWORD src1_sel:WORD_1
	v_fmac_f16_e32 v128, v143, v134
	v_lshrrev_b32_e32 v134, 16, v126
	s_waitcnt vmcnt(0)
	v_mul_f16_sdwa v143, v126, v137 dst_sel:DWORD dst_unused:UNUSED_PAD src0_sel:DWORD src1_sel:WORD_1
	v_fmac_f16_e32 v154, v152, v132
	v_mul_f16_sdwa v152, v152, v132 dst_sel:DWORD dst_unused:UNUSED_PAD src0_sel:DWORD src1_sel:WORD_1
	v_fmac_f16_e32 v130, v151, v85
	;; [unrolled: 2-line block ×6, first 2 shown]
	v_mul_f16_sdwa v134, v134, v137 dst_sel:DWORD dst_unused:UNUSED_PAD src0_sel:DWORD src1_sel:WORD_1
	v_fma_f16 v122, v122, v132, -v152
	v_fma_f16 v85, v123, v85, -v151
	;; [unrolled: 1-line block ×6, first 2 shown]
	v_pack_b32_f16 v118, v118, v144
	v_pack_b32_f16 v119, v119, v148
	;; [unrolled: 1-line block ×12, first 2 shown]
	ds_write2_b32 v138, v118, v119 offset0:9 offset1:252
	ds_write2_b32 v127, v122, v123 offset0:11 offset1:254
	;; [unrolled: 1-line block ×7, first 2 shown]
	s_waitcnt lgkmcnt(0)
	s_barrier
	buffer_gl0_inv
	ds_read2_b32 v[113:114], v82 offset0:2 offset1:245
	ds_read2_b32 v[115:116], v84 offset0:6 offset1:249
	;; [unrolled: 1-line block ×3, first 2 shown]
	ds_read2_b32 v[119:120], v62 offset1:243
	ds_read2_b32 v[121:122], v81 offset0:4 offset1:247
	ds_read2_b32 v[123:124], v79 offset0:6 offset1:249
	;; [unrolled: 1-line block ×3, first 2 shown]
	ds_read_b32 v0, v62 offset:13608
	s_waitcnt lgkmcnt(0)
	s_barrier
	buffer_gl0_inv
	v_pk_add_f16 v85, v116, v113 neg_lo:[0,1] neg_hi:[0,1]
	v_pk_add_f16 v127, v113, v118
	v_pk_add_f16 v128, v119, v116
	v_pk_add_f16 v129, v116, v121
	v_pk_add_f16 v130, v114, v123
	v_pk_add_f16 v131, v125, v122
	v_pk_add_f16 v132, v120, v125
	v_pk_add_f16 v133, v113, v118 neg_lo:[0,1] neg_hi:[0,1]
	v_pk_add_f16 v134, v113, v116 neg_lo:[0,1] neg_hi:[0,1]
	v_pk_add_f16 v135, v125, v114 neg_lo:[0,1] neg_hi:[0,1]
	v_pk_add_f16 v137, v114, v125 neg_lo:[0,1] neg_hi:[0,1]
	v_pk_add_f16 v116, v116, v121 neg_lo:[0,1] neg_hi:[0,1]
	v_pk_add_f16 v140, v115, v126
	v_pk_add_f16 v143, v122, v123 neg_lo:[0,1] neg_hi:[0,1]
	v_pk_add_f16 v144, v123, v122 neg_lo:[0,1] neg_hi:[0,1]
	;; [unrolled: 1-line block ×3, first 2 shown]
	v_pk_add_f16 v138, v117, v124
	v_pk_add_f16 v139, v126, v0
	v_pk_add_f16 v125, v125, v122 neg_lo:[0,1] neg_hi:[0,1]
	v_pk_add_f16 v141, v121, v118 neg_lo:[0,1] neg_hi:[0,1]
	v_pk_add_f16 v145, v126, v0 neg_lo:[0,1] neg_hi:[0,1]
	v_pk_add_f16 v147, v117, v124 neg_lo:[0,1] neg_hi:[0,1]
	v_pk_add_f16 v146, v126, v117 neg_lo:[0,1] neg_hi:[0,1]
	v_pk_add_f16 v126, v117, v126 neg_lo:[0,1] neg_hi:[0,1]
	v_pk_fma_f16 v127, v127, 0.5, v119 op_sel_hi:[1,0,1] neg_lo:[1,0,0] neg_hi:[1,0,0]
	v_pk_fma_f16 v119, v129, 0.5, v119 op_sel_hi:[1,0,1] neg_lo:[1,0,0] neg_hi:[1,0,0]
	;; [unrolled: 1-line block ×4, first 2 shown]
	v_pk_add_f16 v113, v128, v113
	v_pk_add_f16 v114, v132, v114
	;; [unrolled: 1-line block ×5, first 2 shown]
	v_pk_mul_f16 v135, 0x3b9c, v116 op_sel_hi:[0,1]
	v_pk_mul_f16 v137, 0x3b9c, v133 op_sel_hi:[0,1]
	v_pk_fma_f16 v128, v138, 0.5, v115 op_sel_hi:[1,0,1] neg_lo:[1,0,0] neg_hi:[1,0,0]
	v_pk_fma_f16 v115, v139, 0.5, v115 op_sel_hi:[1,0,1] neg_lo:[1,0,0] neg_hi:[1,0,0]
	v_pk_mul_f16 v138, 0x3b9c, v125 op_sel_hi:[0,1]
	v_pk_mul_f16 v139, 0x3b9c, v136 op_sel_hi:[0,1]
	v_pk_add_f16 v142, v118, v121 neg_lo:[0,1] neg_hi:[0,1]
	v_pk_add_f16 v85, v85, v141
	v_pk_mul_f16 v140, 0x3b9c, v145 op_sel_hi:[0,1]
	v_pk_mul_f16 v141, 0x3b9c, v147 op_sel_hi:[0,1]
	v_pk_add_f16 v148, v0, v124 neg_lo:[0,1] neg_hi:[0,1]
	v_pk_add_f16 v149, v124, v0 neg_lo:[0,1] neg_hi:[0,1]
	v_pk_mul_f16 v133, 0x38b4, v133 op_sel_hi:[0,1]
	v_pk_mul_f16 v116, 0x38b4, v116 op_sel_hi:[0,1]
	v_pk_add_f16 v113, v113, v118
	v_pk_add_f16 v114, v114, v123
	;; [unrolled: 1-line block ×3, first 2 shown]
	v_pk_add_f16 v118, v127, v135 op_sel:[0,1] op_sel_hi:[1,0] neg_lo:[0,1] neg_hi:[0,1]
	v_pk_add_f16 v123, v127, v135 op_sel:[0,1] op_sel_hi:[1,0]
	v_pk_add_f16 v124, v119, v137 op_sel:[0,1] op_sel_hi:[1,0]
	v_pk_add_f16 v119, v119, v137 op_sel:[0,1] op_sel_hi:[1,0] neg_lo:[0,1] neg_hi:[0,1]
	v_pk_mul_f16 v136, 0x38b4, v136 op_sel_hi:[0,1]
	v_pk_mul_f16 v125, 0x38b4, v125 op_sel_hi:[0,1]
	v_pk_add_f16 v127, v129, v138 op_sel:[0,1] op_sel_hi:[1,0] neg_lo:[0,1] neg_hi:[0,1]
	v_pk_add_f16 v129, v129, v138 op_sel:[0,1] op_sel_hi:[1,0]
	v_pk_add_f16 v135, v120, v139 op_sel:[0,1] op_sel_hi:[1,0]
	v_pk_add_f16 v120, v120, v139 op_sel:[0,1] op_sel_hi:[1,0] neg_lo:[0,1] neg_hi:[0,1]
	v_pk_add_f16 v130, v134, v142
	v_pk_mul_f16 v142, 0x38b4, v147 op_sel_hi:[0,1]
	v_pk_mul_f16 v143, 0x38b4, v145 op_sel_hi:[0,1]
	v_pk_add_f16 v137, v128, v140 op_sel:[0,1] op_sel_hi:[1,0] neg_lo:[0,1] neg_hi:[0,1]
	v_pk_add_f16 v128, v128, v140 op_sel:[0,1] op_sel_hi:[1,0]
	v_pk_add_f16 v138, v115, v141 op_sel:[0,1] op_sel_hi:[1,0]
	v_pk_add_f16 v115, v115, v141 op_sel:[0,1] op_sel_hi:[1,0] neg_lo:[0,1] neg_hi:[0,1]
	v_pk_add_f16 v113, v113, v121
	v_pk_add_f16 v114, v114, v122
	v_pk_add_f16 v118, v118, v133 op_sel:[0,1] op_sel_hi:[1,0] neg_lo:[0,1] neg_hi:[0,1]
	v_pk_add_f16 v121, v123, v133 op_sel:[0,1] op_sel_hi:[1,0]
	v_pk_add_f16 v122, v124, v116 op_sel:[0,1] op_sel_hi:[1,0] neg_lo:[0,1] neg_hi:[0,1]
	v_pk_add_f16 v116, v119, v116 op_sel:[0,1] op_sel_hi:[1,0]
	;; [unrolled: 2-line block ×5, first 2 shown]
	v_pk_add_f16 v0, v117, v0
	v_pk_add_f16 v117, v138, v143 op_sel:[0,1] op_sel_hi:[1,0] neg_lo:[0,1] neg_hi:[0,1]
	v_pk_add_f16 v115, v115, v143 op_sel:[0,1] op_sel_hi:[1,0]
	v_bfi_b32 v128, 0xffff, v122, v116
	v_bfi_b32 v116, 0xffff, v116, v122
	;; [unrolled: 1-line block ×7, first 2 shown]
	v_pk_add_f16 v134, v146, v148
	v_pk_add_f16 v126, v126, v149
	v_bfi_b32 v119, 0xffff, v123, v119
	v_bfi_b32 v123, 0xffff, v117, v115
	;; [unrolled: 1-line block ×5, first 2 shown]
	v_pk_fma_f16 v122, 0x34f2, v85, v122 op_sel_hi:[0,1,1]
	v_pk_fma_f16 v127, 0x34f2, v130, v128 op_sel_hi:[0,1,1]
	;; [unrolled: 1-line block ×12, first 2 shown]
	ds_write2_b32 v94, v113, v122 offset1:1
	ds_write2_b32 v94, v127, v116 offset0:2 offset1:3
	ds_write_b32 v94, v85 offset:16
	ds_write2_b32 v112, v114, v118 offset1:1
	ds_write2_b32 v112, v121, v120 offset0:2 offset1:3
	ds_write_b32 v112, v119 offset:16
	;; [unrolled: 3-line block ×3, first 2 shown]
	s_waitcnt lgkmcnt(0)
	s_barrier
	buffer_gl0_inv
	ds_read_b32 v0, v62 offset:13608
	ds_read2_b32 v[111:112], v83 offset0:8 offset1:251
	ds_read2_b32 v[113:114], v81 offset0:4 offset1:247
	;; [unrolled: 1-line block ×5, first 2 shown]
	ds_read2_b32 v[121:122], v62 offset1:243
	ds_read2_b32 v[123:124], v84 offset0:6 offset1:249
	s_waitcnt lgkmcnt(0)
	s_barrier
	buffer_gl0_inv
	v_lshrrev_b32_e32 v85, 16, v0
	v_mul_f16_sdwa v94, v57, v0 dst_sel:DWORD dst_unused:UNUSED_PAD src0_sel:WORD_1 src1_sel:DWORD
	v_lshrrev_b32_e32 v125, 16, v112
	v_mul_f16_sdwa v126, v56, v112 dst_sel:DWORD dst_unused:UNUSED_PAD src0_sel:WORD_1 src1_sel:DWORD
	;; [unrolled: 2-line block ×10, first 2 shown]
	v_mul_f16_sdwa v148, v57, v85 dst_sel:DWORD dst_unused:UNUSED_PAD src0_sel:WORD_1 src1_sel:DWORD
	v_fma_f16 v85, v57, v85, -v94
	v_mul_f16_sdwa v94, v56, v125 dst_sel:DWORD dst_unused:UNUSED_PAD src0_sel:WORD_1 src1_sel:DWORD
	v_fma_f16 v125, v56, v125, -v126
	v_mul_f16_sdwa v126, v60, v127 dst_sel:DWORD dst_unused:UNUSED_PAD src0_sel:WORD_1 src1_sel:DWORD
	v_mul_f16_sdwa v149, v61, v129 dst_sel:DWORD dst_unused:UNUSED_PAD src0_sel:WORD_1 src1_sel:DWORD
	v_fma_f16 v127, v60, v127, -v128
	v_fma_f16 v128, v61, v129, -v130
	v_mul_f16_sdwa v129, v59, v131 dst_sel:DWORD dst_unused:UNUSED_PAD src0_sel:WORD_1 src1_sel:DWORD
	v_fma_f16 v130, v59, v131, -v132
	v_fma_f16 v131, v58, v133, -v134
	v_mul_f16_sdwa v132, v58, v133 dst_sel:DWORD dst_unused:UNUSED_PAD src0_sel:WORD_1 src1_sel:DWORD
	v_mul_f16_sdwa v133, v54, v135 dst_sel:DWORD dst_unused:UNUSED_PAD src0_sel:WORD_1 src1_sel:DWORD
	v_mul_f16_sdwa v134, v55, v137 dst_sel:DWORD dst_unused:UNUSED_PAD src0_sel:WORD_1 src1_sel:DWORD
	v_fma_f16 v135, v54, v135, -v136
	v_fma_f16 v136, v55, v137, -v138
	v_mul_f16_sdwa v137, v53, v139 dst_sel:DWORD dst_unused:UNUSED_PAD src0_sel:WORD_1 src1_sel:DWORD
	v_mul_f16_sdwa v138, v52, v141 dst_sel:DWORD dst_unused:UNUSED_PAD src0_sel:WORD_1 src1_sel:DWORD
	v_fma_f16 v139, v53, v139, -v140
	v_fma_f16 v140, v52, v141, -v142
	v_lshrrev_b32_e32 v144, 16, v122
	v_lshrrev_b32_e32 v147, 16, v123
	;; [unrolled: 1-line block ×5, first 2 shown]
	v_fmac_f16_e32 v148, v57, v0
	v_fmac_f16_e32 v94, v56, v112
	;; [unrolled: 1-line block ×7, first 2 shown]
	v_add_f16_e32 v55, v140, v139
	v_add_f16_e32 v61, v131, v130
	v_fmac_f16_e32 v126, v60, v111
	v_fmac_f16_e32 v129, v59, v113
	;; [unrolled: 1-line block ×3, first 2 shown]
	v_add_f16_e32 v53, v135, v136
	v_add_f16_e32 v54, v144, v135
	;; [unrolled: 1-line block ×8, first 2 shown]
	v_fmac_f16_e32 v145, -0.5, v55
	v_fmac_f16_e32 v147, -0.5, v61
	v_add_f16_e32 v55, v94, v148
	v_add_f16_e32 v61, v133, v134
	;; [unrolled: 1-line block ×3, first 2 shown]
	v_sub_f16_e32 v113, v127, v128
	v_fmac_f16_e32 v144, -0.5, v53
	v_add_f16_e32 v53, v54, v136
	v_fmac_f16_e32 v146, -0.5, v58
	v_add_f16_e32 v54, v111, v130
	v_add_f16_e32 v111, v121, v138
	;; [unrolled: 1-line block ×3, first 2 shown]
	v_sub_f16_e32 v120, v126, v149
	v_add_f16_e32 v127, v132, v129
	v_sub_f16_e32 v57, v140, v139
	v_sub_f16_e32 v59, v135, v136
	;; [unrolled: 1-line block ×3, first 2 shown]
	v_fmac_f16_e32 v143, -0.5, v0
	v_add_f16_e32 v0, v56, v139
	v_add_f16_e32 v56, v60, v128
	v_sub_f16_e32 v58, v94, v148
	v_add_f16_e32 v60, v119, v94
	v_add_f16_e32 v52, v52, v85
	v_sub_f16_e32 v85, v133, v134
	v_add_f16_e32 v94, v122, v133
	v_sub_f16_e32 v115, v138, v137
	v_fmac_f16_e32 v119, -0.5, v55
	v_fmac_f16_e32 v122, -0.5, v61
	v_fma_f16 v116, -0.5, v116, v121
	v_sub_f16_e32 v114, v131, v130
	v_add_f16_e32 v118, v124, v126
	v_add_f16_e32 v125, v123, v132
	v_sub_f16_e32 v126, v132, v129
	v_add_f16_e32 v61, v111, v137
	v_fmac_f16_e32 v124, -0.5, v117
	v_fmamk_f16 v111, v120, 0x3aee, v146
	v_fmac_f16_e32 v146, 0xbaee, v120
	v_fma_f16 v120, -0.5, v127, v123
	v_fmamk_f16 v55, v58, 0x3aee, v143
	v_fmac_f16_e32 v143, 0xbaee, v58
	v_fmamk_f16 v58, v85, 0x3aee, v144
	v_fmac_f16_e32 v144, 0xbaee, v85
	v_fmamk_f16 v85, v115, 0x3aee, v145
	v_fmamk_f16 v121, v112, 0xbaee, v119
	v_fmac_f16_e32 v119, 0x3aee, v112
	v_fmamk_f16 v112, v59, 0xbaee, v122
	v_fmac_f16_e32 v122, 0x3aee, v59
	;; [unrolled: 2-line block ×3, first 2 shown]
	v_fmac_f16_e32 v116, 0x3aee, v57
	v_add_f16_e32 v94, v94, v134
	v_add_f16_e32 v115, v125, v129
	v_fmamk_f16 v117, v126, 0x3aee, v147
	v_add_f16_e32 v118, v118, v149
	v_add_f16_e32 v60, v60, v148
	v_pack_b32_f16 v0, v61, v0
	v_fmamk_f16 v57, v113, 0xbaee, v124
	v_fmamk_f16 v61, v114, 0xbaee, v120
	v_fmac_f16_e32 v147, 0xbaee, v126
	v_fmac_f16_e32 v124, 0x3aee, v113
	;; [unrolled: 1-line block ×3, first 2 shown]
	v_pack_b32_f16 v59, v59, v85
	v_pack_b32_f16 v85, v116, v145
	;; [unrolled: 1-line block ×14, first 2 shown]
	ds_write2_b32 v106, v0, v59 offset1:5
	ds_write_b32 v106, v85 offset:40
	ds_write2_b32 v110, v53, v58 offset1:5
	ds_write_b32 v110, v94 offset:40
	;; [unrolled: 2-line block ×5, first 2 shown]
	s_waitcnt lgkmcnt(0)
	s_barrier
	buffer_gl0_inv
	ds_read_b32 v0, v62 offset:13608
	ds_read2_b32 v[52:53], v83 offset0:8 offset1:251
	ds_read2_b32 v[54:55], v81 offset0:4 offset1:247
	ds_read2_b32 v[56:57], v82 offset0:2 offset1:245
	ds_read2_b32 v[58:59], v79 offset0:6 offset1:249
	ds_read2_b32 v[60:61], v80 offset0:12 offset1:255
	ds_read2_b32 v[106:107], v62 offset1:243
	ds_read2_b32 v[108:109], v84 offset0:6 offset1:249
	s_waitcnt lgkmcnt(0)
	s_barrier
	buffer_gl0_inv
	v_lshrrev_b32_e32 v85, 16, v0
	v_mul_f16_sdwa v94, v47, v0 dst_sel:DWORD dst_unused:UNUSED_PAD src0_sel:WORD_1 src1_sel:DWORD
	v_lshrrev_b32_e32 v110, 16, v53
	v_mul_f16_sdwa v111, v46, v53 dst_sel:DWORD dst_unused:UNUSED_PAD src0_sel:WORD_1 src1_sel:DWORD
	;; [unrolled: 2-line block ×10, first 2 shown]
	v_mul_f16_sdwa v133, v47, v85 dst_sel:DWORD dst_unused:UNUSED_PAD src0_sel:WORD_1 src1_sel:DWORD
	v_fma_f16 v85, v47, v85, -v94
	v_fma_f16 v94, v46, v110, -v111
	v_mul_f16_sdwa v110, v46, v110 dst_sel:DWORD dst_unused:UNUSED_PAD src0_sel:WORD_1 src1_sel:DWORD
	v_fma_f16 v111, v50, v112, -v113
	v_fma_f16 v113, v51, v114, -v115
	;; [unrolled: 1-line block ×5, first 2 shown]
	v_mul_f16_sdwa v120, v44, v120 dst_sel:DWORD dst_unused:UNUSED_PAD src0_sel:WORD_1 src1_sel:DWORD
	v_fma_f16 v121, v45, v122, -v123
	v_mul_f16_sdwa v122, v45, v122 dst_sel:DWORD dst_unused:UNUSED_PAD src0_sel:WORD_1 src1_sel:DWORD
	v_fma_f16 v123, v43, v124, -v125
	;; [unrolled: 2-line block ×3, first 2 shown]
	v_mul_f16_sdwa v126, v42, v126 dst_sel:DWORD dst_unused:UNUSED_PAD src0_sel:WORD_1 src1_sel:DWORD
	v_mul_f16_sdwa v112, v50, v112 dst_sel:DWORD dst_unused:UNUSED_PAD src0_sel:WORD_1 src1_sel:DWORD
	;; [unrolled: 1-line block ×5, first 2 shown]
	v_lshrrev_b32_e32 v128, 16, v60
	v_lshrrev_b32_e32 v129, 16, v107
	v_lshrrev_b32_e32 v130, 16, v106
	v_fmac_f16_e32 v133, v47, v0
	v_fmac_f16_e32 v110, v46, v53
	v_fmac_f16_e32 v120, v44, v56
	v_fmac_f16_e32 v122, v45, v59
	v_fmac_f16_e32 v124, v43, v58
	v_fmac_f16_e32 v126, v42, v61
	v_add_f16_e32 v0, v94, v85
	v_add_f16_e32 v44, v119, v121
	v_lshrrev_b32_e32 v131, 16, v109
	v_fmac_f16_e32 v112, v50, v52
	v_fmac_f16_e32 v114, v51, v55
	;; [unrolled: 1-line block ×4, first 2 shown]
	v_add_f16_e32 v47, v125, v123
	v_add_f16_e32 v50, v111, v113
	;; [unrolled: 1-line block ×3, first 2 shown]
	v_sub_f16_e32 v43, v94, v85
	v_add_f16_e32 v45, v129, v119
	v_add_f16_e32 v48, v130, v125
	v_fmac_f16_e32 v128, -0.5, v0
	v_add_f16_e32 v0, v110, v133
	v_sub_f16_e32 v57, v110, v133
	v_fmac_f16_e32 v129, -0.5, v44
	v_add_f16_e32 v44, v120, v122
	v_sub_f16_e32 v59, v120, v122
	v_add_f16_e32 v61, v126, v124
	v_add_f16_e32 v94, v106, v126
	v_lshrrev_b32_e32 v132, 16, v108
	v_add_f16_e32 v51, v131, v111
	v_sub_f16_e32 v52, v111, v113
	v_add_f16_e32 v53, v117, v115
	v_add_f16_e32 v56, v60, v110
	;; [unrolled: 1-line block ×3, first 2 shown]
	v_fmac_f16_e32 v130, -0.5, v47
	v_sub_f16_e32 v47, v126, v124
	v_fmac_f16_e32 v131, -0.5, v50
	v_add_f16_e32 v50, v112, v114
	v_add_f16_e32 v110, v109, v112
	v_sub_f16_e32 v111, v112, v114
	v_add_f16_e32 v112, v118, v116
	v_sub_f16_e32 v46, v119, v121
	v_sub_f16_e32 v49, v125, v123
	v_add_f16_e32 v48, v48, v123
	v_fmac_f16_e32 v60, -0.5, v0
	v_fmamk_f16 v0, v57, 0x3aee, v128
	v_fmac_f16_e32 v128, 0xbaee, v57
	v_fmac_f16_e32 v107, -0.5, v44
	v_fmamk_f16 v44, v59, 0x3aee, v129
	v_fmac_f16_e32 v129, 0xbaee, v59
	v_fma_f16 v57, -0.5, v61, v106
	v_add_f16_e32 v59, v94, v124
	v_add_f16_e32 v54, v132, v117
	v_sub_f16_e32 v55, v117, v115
	v_add_f16_e32 v117, v108, v118
	v_add_f16_e32 v45, v45, v121
	v_fmac_f16_e32 v132, -0.5, v53
	v_sub_f16_e32 v53, v118, v116
	v_fmamk_f16 v61, v47, 0x3aee, v130
	v_fmac_f16_e32 v130, 0xbaee, v47
	v_add_f16_e32 v47, v58, v122
	v_fmac_f16_e32 v109, -0.5, v50
	v_fma_f16 v58, -0.5, v112, v108
	v_fmamk_f16 v106, v43, 0xbaee, v60
	v_fmac_f16_e32 v60, 0x3aee, v43
	v_fmamk_f16 v43, v46, 0xbaee, v107
	v_fmac_f16_e32 v107, 0x3aee, v46
	v_pack_b32_f16 v46, v59, v48
	v_fmamk_f16 v48, v49, 0xbaee, v57
	v_fmac_f16_e32 v57, 0x3aee, v49
	v_add_f16_e32 v54, v54, v115
	v_add_f16_e32 v42, v42, v85
	;; [unrolled: 1-line block ×4, first 2 shown]
	v_fmamk_f16 v50, v111, 0x3aee, v131
	v_fmac_f16_e32 v131, 0xbaee, v111
	v_fmamk_f16 v94, v53, 0x3aee, v132
	v_fmac_f16_e32 v132, 0xbaee, v53
	v_add_f16_e32 v53, v110, v114
	v_add_f16_e32 v56, v56, v133
	v_pack_b32_f16 v45, v47, v45
	v_fmamk_f16 v47, v52, 0xbaee, v109
	v_fmac_f16_e32 v109, 0x3aee, v52
	v_fmamk_f16 v52, v55, 0xbaee, v58
	v_fmac_f16_e32 v58, 0x3aee, v55
	v_pack_b32_f16 v48, v48, v61
	v_pack_b32_f16 v55, v57, v130
	;; [unrolled: 1-line block ×13, first 2 shown]
	ds_write2_b32 v101, v46, v48 offset1:15
	ds_write_b32 v101, v55 offset:120
	ds_write2_b32 v105, v45, v43 offset1:15
	ds_write_b32 v105, v54 offset:120
	;; [unrolled: 2-line block ×5, first 2 shown]
	s_waitcnt lgkmcnt(0)
	s_barrier
	buffer_gl0_inv
	ds_read_b32 v0, v62 offset:13608
	ds_read2_b32 v[42:43], v83 offset0:8 offset1:251
	ds_read2_b32 v[44:45], v81 offset0:4 offset1:247
	;; [unrolled: 1-line block ×5, first 2 shown]
	ds_read2_b32 v[52:53], v62 offset1:243
	ds_read2_b32 v[54:55], v84 offset0:6 offset1:249
	s_waitcnt lgkmcnt(0)
	s_barrier
	buffer_gl0_inv
	v_lshrrev_b32_e32 v56, 16, v0
	v_mul_f16_sdwa v57, v39, v0 dst_sel:DWORD dst_unused:UNUSED_PAD src0_sel:WORD_1 src1_sel:DWORD
	v_lshrrev_b32_e32 v58, 16, v43
	v_mul_f16_sdwa v59, v38, v43 dst_sel:DWORD dst_unused:UNUSED_PAD src0_sel:WORD_1 src1_sel:DWORD
	;; [unrolled: 2-line block ×10, first 2 shown]
	v_fma_f16 v57, v39, v56, -v57
	v_mul_f16_sdwa v56, v39, v56 dst_sel:DWORD dst_unused:UNUSED_PAD src0_sel:WORD_1 src1_sel:DWORD
	v_fma_f16 v59, v38, v58, -v59
	v_mul_f16_sdwa v58, v38, v58 dst_sel:DWORD dst_unused:UNUSED_PAD src0_sel:WORD_1 src1_sel:DWORD
	v_mul_f16_sdwa v118, v40, v60 dst_sel:DWORD dst_unused:UNUSED_PAD src0_sel:WORD_1 src1_sel:DWORD
	v_fma_f16 v60, v40, v60, -v61
	v_fma_f16 v61, v41, v85, -v94
	v_mul_f16_sdwa v94, v37, v101 dst_sel:DWORD dst_unused:UNUSED_PAD src0_sel:WORD_1 src1_sel:DWORD
	v_fma_f16 v101, v37, v101, -v102
	v_fma_f16 v102, v36, v103, -v104
	;; [unrolled: 3-line block ×3, first 2 shown]
	v_mul_f16_sdwa v107, v35, v107 dst_sel:DWORD dst_unused:UNUSED_PAD src0_sel:WORD_1 src1_sel:DWORD
	v_mul_f16_sdwa v108, v33, v109 dst_sel:DWORD dst_unused:UNUSED_PAD src0_sel:WORD_1 src1_sel:DWORD
	v_fma_f16 v109, v33, v109, -v110
	v_fma_f16 v110, v32, v111, -v112
	v_mul_f16_sdwa v111, v32, v111 dst_sel:DWORD dst_unused:UNUSED_PAD src0_sel:WORD_1 src1_sel:DWORD
	v_mul_f16_sdwa v85, v41, v85 dst_sel:DWORD dst_unused:UNUSED_PAD src0_sel:WORD_1 src1_sel:DWORD
	;; [unrolled: 1-line block ×3, first 2 shown]
	v_lshrrev_b32_e32 v113, 16, v50
	v_lshrrev_b32_e32 v114, 16, v53
	;; [unrolled: 1-line block ×3, first 2 shown]
	v_fmac_f16_e32 v56, v39, v0
	v_fmac_f16_e32 v58, v38, v43
	;; [unrolled: 1-line block ×6, first 2 shown]
	v_add_f16_e32 v0, v59, v57
	v_add_f16_e32 v34, v105, v106
	v_lshrrev_b32_e32 v116, 16, v55
	v_lshrrev_b32_e32 v117, 16, v54
	v_fmac_f16_e32 v118, v40, v42
	v_fmac_f16_e32 v85, v41, v45
	;; [unrolled: 1-line block ×4, first 2 shown]
	v_add_f16_e32 v37, v110, v109
	v_add_f16_e32 v40, v60, v61
	;; [unrolled: 1-line block ×5, first 2 shown]
	v_fmac_f16_e32 v113, -0.5, v0
	v_add_f16_e32 v0, v58, v56
	v_add_f16_e32 v46, v50, v58
	v_sub_f16_e32 v47, v58, v56
	v_fmac_f16_e32 v114, -0.5, v34
	v_add_f16_e32 v34, v104, v107
	v_sub_f16_e32 v49, v104, v107
	v_add_f16_e32 v51, v111, v108
	v_add_f16_e32 v58, v52, v111
	v_add_f16_e32 v41, v116, v60
	v_add_f16_e32 v43, v102, v101
	v_add_f16_e32 v44, v117, v102
	v_sub_f16_e32 v45, v102, v101
	v_add_f16_e32 v48, v53, v104
	v_fmac_f16_e32 v115, -0.5, v37
	v_sub_f16_e32 v37, v111, v108
	v_fmac_f16_e32 v116, -0.5, v40
	v_add_f16_e32 v40, v118, v85
	v_add_f16_e32 v102, v103, v94
	v_sub_f16_e32 v33, v59, v57
	v_sub_f16_e32 v36, v105, v106
	;; [unrolled: 1-line block ×3, first 2 shown]
	v_add_f16_e32 v38, v38, v109
	v_fmac_f16_e32 v50, -0.5, v0
	v_fmamk_f16 v0, v47, 0x3aee, v113
	v_fmac_f16_e32 v113, 0xbaee, v47
	v_fmac_f16_e32 v53, -0.5, v34
	v_fmamk_f16 v34, v49, 0x3aee, v114
	v_fmac_f16_e32 v114, 0xbaee, v49
	v_fma_f16 v47, -0.5, v51, v52
	v_add_f16_e32 v49, v58, v108
	v_add_f16_e32 v104, v54, v103
	v_sub_f16_e32 v42, v60, v61
	v_add_f16_e32 v35, v35, v106
	v_add_f16_e32 v59, v55, v118
	v_fmac_f16_e32 v117, -0.5, v43
	v_sub_f16_e32 v43, v103, v94
	v_fmamk_f16 v51, v37, 0x3aee, v115
	v_fmac_f16_e32 v115, 0xbaee, v37
	v_add_f16_e32 v37, v48, v107
	v_fmac_f16_e32 v55, -0.5, v40
	v_fma_f16 v48, -0.5, v102, v54
	v_sub_f16_e32 v60, v118, v85
	v_add_f16_e32 v46, v46, v56
	v_fmamk_f16 v56, v33, 0xbaee, v50
	v_fmac_f16_e32 v50, 0x3aee, v33
	v_fmamk_f16 v33, v36, 0xbaee, v53
	v_fmac_f16_e32 v53, 0x3aee, v36
	v_pack_b32_f16 v36, v49, v38
	v_fmamk_f16 v38, v39, 0xbaee, v47
	v_fmac_f16_e32 v47, 0x3aee, v39
	v_add_f16_e32 v44, v44, v101
	v_add_f16_e32 v52, v104, v94
	;; [unrolled: 1-line block ×4, first 2 shown]
	v_fmamk_f16 v54, v43, 0x3aee, v117
	v_fmac_f16_e32 v117, 0xbaee, v43
	v_add_f16_e32 v43, v59, v85
	v_pack_b32_f16 v35, v37, v35
	v_fmamk_f16 v37, v42, 0xbaee, v55
	v_fmac_f16_e32 v55, 0x3aee, v42
	v_fmamk_f16 v42, v45, 0xbaee, v48
	v_fmamk_f16 v40, v60, 0x3aee, v116
	v_fmac_f16_e32 v116, 0xbaee, v60
	v_fmac_f16_e32 v48, 0x3aee, v45
	v_pack_b32_f16 v38, v38, v51
	v_pack_b32_f16 v45, v47, v115
	;; [unrolled: 1-line block ×13, first 2 shown]
	ds_write2_b32 v100, v36, v38 offset1:45
	ds_write_b32 v100, v45 offset:360
	ds_write2_b32 v99, v35, v33 offset1:45
	ds_write_b32 v99, v44 offset:360
	;; [unrolled: 2-line block ×5, first 2 shown]
	s_waitcnt lgkmcnt(0)
	s_barrier
	buffer_gl0_inv
	ds_read_b32 v0, v62 offset:13608
	ds_read2_b32 v[32:33], v83 offset0:8 offset1:251
	ds_read2_b32 v[38:39], v81 offset0:4 offset1:247
	;; [unrolled: 1-line block ×5, first 2 shown]
	ds_read2_b32 v[46:47], v62 offset1:243
	ds_read2_b32 v[48:49], v84 offset0:6 offset1:249
	s_waitcnt lgkmcnt(0)
	s_barrier
	buffer_gl0_inv
	v_mad_u64_u32 v[36:37], null, s24, v78, 0
	v_mad_u64_u32 v[34:35], null, s26, v1, 0
	v_lshrrev_b32_e32 v50, 16, v0
	v_mul_f16_sdwa v51, v27, v0 dst_sel:DWORD dst_unused:UNUSED_PAD src0_sel:WORD_1 src1_sel:DWORD
	v_lshrrev_b32_e32 v52, 16, v33
	v_mul_f16_sdwa v53, v26, v33 dst_sel:DWORD dst_unused:UNUSED_PAD src0_sel:WORD_1 src1_sel:DWORD
	;; [unrolled: 2-line block ×10, first 2 shown]
	v_fma_f16 v51, v27, v50, -v51
	v_mul_f16_sdwa v50, v27, v50 dst_sel:DWORD dst_unused:UNUSED_PAD src0_sel:WORD_1 src1_sel:DWORD
	v_fma_f16 v53, v26, v52, -v53
	v_mul_f16_sdwa v52, v26, v52 dst_sel:DWORD dst_unused:UNUSED_PAD src0_sel:WORD_1 src1_sel:DWORD
	v_mul_f16_sdwa v107, v30, v54 dst_sel:DWORD dst_unused:UNUSED_PAD src0_sel:WORD_1 src1_sel:DWORD
	v_fma_f16 v54, v30, v54, -v55
	v_fma_f16 v55, v31, v56, -v57
	v_mul_f16_sdwa v57, v29, v58 dst_sel:DWORD dst_unused:UNUSED_PAD src0_sel:WORD_1 src1_sel:DWORD
	v_fma_f16 v58, v29, v58, -v59
	v_fma_f16 v59, v28, v60, -v61
	;; [unrolled: 3-line block ×3, first 2 shown]
	v_mul_f16_sdwa v96, v25, v96 dst_sel:DWORD dst_unused:UNUSED_PAD src0_sel:WORD_1 src1_sel:DWORD
	v_mul_f16_sdwa v97, v23, v98 dst_sel:DWORD dst_unused:UNUSED_PAD src0_sel:WORD_1 src1_sel:DWORD
	v_fma_f16 v98, v23, v98, -v99
	v_fma_f16 v99, v22, v100, -v101
	v_mul_f16_sdwa v100, v22, v100 dst_sel:DWORD dst_unused:UNUSED_PAD src0_sel:WORD_1 src1_sel:DWORD
	v_mul_f16_sdwa v56, v31, v56 dst_sel:DWORD dst_unused:UNUSED_PAD src0_sel:WORD_1 src1_sel:DWORD
	;; [unrolled: 1-line block ×3, first 2 shown]
	v_lshrrev_b32_e32 v102, 16, v44
	v_lshrrev_b32_e32 v103, 16, v47
	;; [unrolled: 1-line block ×3, first 2 shown]
	v_fmac_f16_e32 v50, v27, v0
	v_fmac_f16_e32 v52, v26, v33
	;; [unrolled: 1-line block ×6, first 2 shown]
	v_add_f16_e32 v0, v53, v51
	v_add_f16_e32 v24, v85, v94
	v_lshrrev_b32_e32 v105, 16, v49
	v_lshrrev_b32_e32 v106, 16, v48
	v_fmac_f16_e32 v107, v30, v32
	v_fmac_f16_e32 v56, v31, v39
	;; [unrolled: 1-line block ×4, first 2 shown]
	v_add_f16_e32 v27, v99, v98
	v_add_f16_e32 v30, v54, v55
	;; [unrolled: 1-line block ×5, first 2 shown]
	v_fmac_f16_e32 v102, -0.5, v0
	v_add_f16_e32 v0, v52, v50
	v_add_f16_e32 v40, v44, v52
	v_sub_f16_e32 v41, v52, v50
	v_fmac_f16_e32 v103, -0.5, v24
	v_add_f16_e32 v24, v61, v96
	v_sub_f16_e32 v43, v61, v96
	v_add_f16_e32 v45, v100, v97
	v_add_f16_e32 v52, v46, v100
	;; [unrolled: 1-line block ×5, first 2 shown]
	v_sub_f16_e32 v39, v59, v58
	v_add_f16_e32 v42, v47, v61
	v_fmac_f16_e32 v104, -0.5, v27
	v_sub_f16_e32 v27, v100, v97
	v_fmac_f16_e32 v105, -0.5, v30
	v_add_f16_e32 v30, v107, v56
	v_add_f16_e32 v59, v60, v57
	v_sub_f16_e32 v23, v53, v51
	v_sub_f16_e32 v26, v85, v94
	;; [unrolled: 1-line block ×3, first 2 shown]
	v_add_f16_e32 v28, v28, v98
	v_fmac_f16_e32 v44, -0.5, v0
	v_fmamk_f16 v0, v41, 0x3aee, v102
	v_fmac_f16_e32 v102, 0xbaee, v41
	v_fmac_f16_e32 v47, -0.5, v24
	v_fmamk_f16 v24, v43, 0x3aee, v103
	v_fmac_f16_e32 v103, 0xbaee, v43
	v_fma_f16 v41, -0.5, v45, v46
	v_add_f16_e32 v43, v52, v97
	v_add_f16_e32 v61, v48, v60
	v_sub_f16_e32 v32, v54, v55
	v_add_f16_e32 v25, v25, v94
	v_add_f16_e32 v53, v49, v107
	v_sub_f16_e32 v54, v107, v56
	v_fmac_f16_e32 v106, -0.5, v33
	v_sub_f16_e32 v33, v60, v57
	v_fmamk_f16 v45, v27, 0x3aee, v104
	v_fmac_f16_e32 v104, 0xbaee, v27
	v_add_f16_e32 v27, v42, v96
	v_fmac_f16_e32 v49, -0.5, v30
	v_fma_f16 v42, -0.5, v59, v48
	v_add_f16_e32 v40, v40, v50
	v_fmamk_f16 v50, v23, 0xbaee, v44
	v_fmac_f16_e32 v44, 0x3aee, v23
	v_fmamk_f16 v23, v26, 0xbaee, v47
	v_fmac_f16_e32 v47, 0x3aee, v26
	v_pack_b32_f16 v26, v43, v28
	v_fmamk_f16 v28, v29, 0xbaee, v41
	v_fmac_f16_e32 v41, 0x3aee, v29
	v_add_f16_e32 v38, v38, v58
	v_add_f16_e32 v46, v61, v57
	;; [unrolled: 1-line block ×3, first 2 shown]
	v_fmamk_f16 v30, v54, 0x3aee, v105
	v_fmamk_f16 v48, v33, 0x3aee, v106
	v_pack_b32_f16 v25, v27, v25
	v_fmamk_f16 v27, v32, 0xbaee, v49
	v_fmac_f16_e32 v49, 0x3aee, v32
	v_fmamk_f16 v32, v39, 0xbaee, v42
	v_add_f16_e32 v31, v31, v55
	v_fmac_f16_e32 v105, 0xbaee, v54
	v_fmac_f16_e32 v106, 0xbaee, v33
	v_add_f16_e32 v33, v53, v56
	v_fmac_f16_e32 v42, 0x3aee, v39
	v_pack_b32_f16 v28, v28, v45
	v_pack_b32_f16 v39, v41, v104
	v_pack_b32_f16 v23, v23, v24
	v_pack_b32_f16 v29, v46, v38
	v_pack_b32_f16 v38, v47, v103
	v_pack_b32_f16 v22, v40, v22
	v_pack_b32_f16 v32, v32, v48
	v_pack_b32_f16 v27, v27, v30
	v_pack_b32_f16 v31, v33, v31
	v_pack_b32_f16 v33, v44, v102
	v_pack_b32_f16 v24, v49, v105
	v_pack_b32_f16 v40, v42, v106
	v_pack_b32_f16 v0, v50, v0
	ds_write2_b32 v90, v26, v28 offset1:135
	ds_write_b32 v90, v39 offset:1080
	ds_write2_b32 v93, v25, v23 offset1:135
	ds_write_b32 v93, v38 offset:1080
	;; [unrolled: 2-line block ×5, first 2 shown]
	s_waitcnt lgkmcnt(0)
	s_barrier
	buffer_gl0_inv
	ds_read2_b32 v[22:23], v83 offset0:8 offset1:251
	ds_read_b32 v27, v62 offset:13608
	v_mov_b32_e32 v26, v37
	ds_read2_b32 v[24:25], v81 offset0:4 offset1:247
	ds_read2_b32 v[28:29], v82 offset0:2 offset1:245
	v_mov_b32_e32 v0, v35
	v_mad_u64_u32 v[0:1], null, s27, v1, v[0:1]
	s_mov_b32 s26, 0xdc4fce8b
	s_mov_b32 s27, 0x3f31fc10
	s_waitcnt lgkmcnt(3)
	v_lshrrev_b32_e32 v1, 16, v23
	s_waitcnt lgkmcnt(2)
	v_mad_u64_u32 v[30:31], null, s25, v78, v[26:27]
	ds_read2_b32 v[31:32], v79 offset0:6 offset1:249
	ds_read2_b32 v[37:38], v80 offset0:12 offset1:255
	ds_read2_b32 v[39:40], v62 offset1:243
	ds_read2_b32 v[41:42], v84 offset0:6 offset1:249
	v_mul_f16_sdwa v26, v6, v23 dst_sel:DWORD dst_unused:UNUSED_PAD src0_sel:WORD_1 src1_sel:DWORD
	v_lshrrev_b32_e32 v33, 16, v27
	v_lshrrev_b32_e32 v35, 16, v22
	v_mul_f16_sdwa v43, v7, v27 dst_sel:DWORD dst_unused:UNUSED_PAD src0_sel:WORD_1 src1_sel:DWORD
	v_mul_f16_sdwa v44, v10, v22 dst_sel:DWORD dst_unused:UNUSED_PAD src0_sel:WORD_1 src1_sel:DWORD
	s_waitcnt lgkmcnt(5)
	v_lshrrev_b32_e32 v45, 16, v25
	v_mul_f16_sdwa v46, v11, v25 dst_sel:DWORD dst_unused:UNUSED_PAD src0_sel:WORD_1 src1_sel:DWORD
	v_lshrrev_b32_e32 v47, 16, v24
	s_waitcnt lgkmcnt(4)
	v_lshrrev_b32_e32 v48, 16, v29
	v_mul_f16_sdwa v49, v9, v24 dst_sel:DWORD dst_unused:UNUSED_PAD src0_sel:WORD_1 src1_sel:DWORD
	v_mul_f16_sdwa v50, v8, v29 dst_sel:DWORD dst_unused:UNUSED_PAD src0_sel:WORD_1 src1_sel:DWORD
	v_lshrrev_b32_e32 v51, 16, v28
	v_mul_f16_sdwa v52, v4, v28 dst_sel:DWORD dst_unused:UNUSED_PAD src0_sel:WORD_1 src1_sel:DWORD
	v_mul_f16_sdwa v90, v6, v1 dst_sel:DWORD dst_unused:UNUSED_PAD src0_sel:WORD_1 src1_sel:DWORD
	v_fma_f16 v1, v6, v1, -v26
	v_mul_f16_sdwa v26, v7, v33 dst_sel:DWORD dst_unused:UNUSED_PAD src0_sel:WORD_1 src1_sel:DWORD
	s_waitcnt lgkmcnt(3)
	v_lshrrev_b32_e32 v53, 16, v32
	v_mul_f16_sdwa v54, v5, v32 dst_sel:DWORD dst_unused:UNUSED_PAD src0_sel:WORD_1 src1_sel:DWORD
	v_lshrrev_b32_e32 v55, 16, v31
	v_mul_f16_sdwa v56, v3, v31 dst_sel:DWORD dst_unused:UNUSED_PAD src0_sel:WORD_1 src1_sel:DWORD
	s_waitcnt lgkmcnt(2)
	v_lshrrev_b32_e32 v57, 16, v38
	v_mul_f16_sdwa v58, v2, v38 dst_sel:DWORD dst_unused:UNUSED_PAD src0_sel:WORD_1 src1_sel:DWORD
	v_lshrrev_b32_e32 v85, 16, v37
	v_fma_f16 v33, v7, v33, -v43
	v_mul_f16_sdwa v43, v10, v35 dst_sel:DWORD dst_unused:UNUSED_PAD src0_sel:WORD_1 src1_sel:DWORD
	v_fma_f16 v35, v10, v35, -v44
	v_mul_f16_sdwa v44, v11, v45 dst_sel:DWORD dst_unused:UNUSED_PAD src0_sel:WORD_1 src1_sel:DWORD
	;; [unrolled: 2-line block ×5, first 2 shown]
	v_fma_f16 v51, v4, v51, -v52
	v_fma_f16 v52, v5, v53, -v54
	v_mul_f16_sdwa v53, v5, v53 dst_sel:DWORD dst_unused:UNUSED_PAD src0_sel:WORD_1 src1_sel:DWORD
	v_mul_f16_sdwa v54, v3, v55 dst_sel:DWORD dst_unused:UNUSED_PAD src0_sel:WORD_1 src1_sel:DWORD
	v_fma_f16 v55, v3, v55, -v56
	v_fma_f16 v56, v2, v57, -v58
	v_mul_f16_sdwa v57, v2, v57 dst_sel:DWORD dst_unused:UNUSED_PAD src0_sel:WORD_1 src1_sel:DWORD
	s_waitcnt lgkmcnt(1)
	v_lshrrev_b32_e32 v59, 16, v40
	v_lshrrev_b32_e32 v60, 16, v39
	s_waitcnt lgkmcnt(0)
	v_lshrrev_b32_e32 v61, 16, v41
	v_lshrrev_b32_e32 v78, 16, v42
	v_fmac_f16_e32 v90, v6, v23
	v_fmac_f16_e32 v26, v7, v27
	;; [unrolled: 1-line block ×10, first 2 shown]
	v_add_f16_e32 v2, v51, v52
	v_add_f16_e32 v9, v50, v47
	v_add_f16_e32 v24, v85, v1
	v_add_f16_e32 v25, v1, v33
	v_add_f16_e32 v3, v59, v51
	v_add_f16_e32 v5, v60, v56
	v_add_f16_e32 v6, v56, v55
	v_add_f16_e32 v8, v61, v50
	v_add_f16_e32 v11, v78, v35
	v_add_f16_e32 v22, v35, v45
	v_sub_f16_e32 v23, v35, v45
	v_sub_f16_e32 v1, v1, v33
	v_fmac_f16_e32 v59, -0.5, v2
	v_add_f16_e32 v2, v49, v53
	v_sub_f16_e32 v28, v49, v53
	v_add_f16_e32 v29, v57, v54
	v_add_f16_e32 v31, v39, v57
	v_fmac_f16_e32 v61, -0.5, v9
	v_add_f16_e32 v9, v24, v33
	v_fmac_f16_e32 v85, -0.5, v25
	v_add_f16_e32 v25, v48, v46
	v_add_f16_e32 v32, v42, v43
	;; [unrolled: 1-line block ×3, first 2 shown]
	v_sub_f16_e32 v35, v43, v44
	v_add_f16_e32 v43, v90, v26
	v_sub_f16_e32 v4, v51, v52
	v_sub_f16_e32 v7, v56, v55
	;; [unrolled: 1-line block ×3, first 2 shown]
	v_add_f16_e32 v27, v40, v49
	v_add_f16_e32 v5, v5, v55
	v_fmac_f16_e32 v60, -0.5, v6
	v_add_f16_e32 v6, v8, v47
	v_add_f16_e32 v8, v11, v45
	v_fmac_f16_e32 v78, -0.5, v22
	v_sub_f16_e32 v11, v57, v54
	v_sub_f16_e32 v24, v48, v46
	v_add_f16_e32 v38, v37, v90
	v_fmac_f16_e32 v40, -0.5, v2
	v_fmamk_f16 v2, v28, 0x3aee, v59
	v_fmac_f16_e32 v59, 0xbaee, v28
	v_fma_f16 v28, -0.5, v29, v39
	v_add_f16_e32 v29, v31, v54
	v_fmac_f16_e32 v42, -0.5, v33
	v_fmac_f16_e32 v37, -0.5, v43
	v_fma_f16 v25, -0.5, v25, v41
	v_add_f16_e32 v22, v41, v48
	v_sub_f16_e32 v45, v90, v26
	v_fmamk_f16 v31, v11, 0x3aee, v60
	v_fmac_f16_e32 v60, 0xbaee, v11
	v_add_f16_e32 v11, v27, v53
	v_fmamk_f16 v27, v24, 0x3aee, v61
	v_fmac_f16_e32 v61, 0xbaee, v24
	v_add_f16_e32 v24, v32, v44
	v_fmamk_f16 v32, v35, 0x3aee, v78
	v_fmac_f16_e32 v78, 0xbaee, v35
	v_fmamk_f16 v35, v4, 0xbaee, v40
	v_fmac_f16_e32 v40, 0x3aee, v4
	;; [unrolled: 2-line block ×6, first 2 shown]
	v_pack_b32_f16 v1, v29, v5
	v_add_f16_e32 v3, v3, v52
	v_add_f16_e32 v22, v22, v46
	;; [unrolled: 1-line block ×3, first 2 shown]
	v_fmamk_f16 v33, v45, 0x3aee, v85
	s_barrier
	buffer_gl0_inv
	v_fmac_f16_e32 v85, 0xbaee, v45
	ds_write_b32 v62, v1
	v_pack_b32_f16 v1, v4, v31
	v_pack_b32_f16 v4, v28, v60
	;; [unrolled: 1-line block ×3, first 2 shown]
	v_mov_b32_e32 v35, v0
	v_pack_b32_f16 v3, v11, v3
	v_pack_b32_f16 v5, v22, v6
	;; [unrolled: 1-line block ×11, first 2 shown]
	ds_write_b32 v62, v1 offset:1620
	ds_write_b32 v62, v4 offset:3240
	ds_write_b32 v86, v3
	ds_write_b32 v86, v2 offset:1620
	ds_write_b32 v86, v9 offset:3240
	ds_write_b32 v62, v5 offset:5184
	ds_write_b32 v62, v7 offset:6804
	ds_write_b32 v62, v11 offset:8424
	ds_write_b32 v88, v6
	ds_write_b32 v88, v10 offset:1620
	ds_write_b32 v88, v22 offset:3240
	;; [unrolled: 1-line block ×5, first 2 shown]
	s_waitcnt lgkmcnt(0)
	s_barrier
	buffer_gl0_inv
	ds_read2_b32 v[1:2], v62 offset1:243
	ds_read2_b32 v[3:4], v80 offset0:12 offset1:255
	ds_read2_b32 v[5:6], v83 offset0:8 offset1:251
	ds_read_b32 v11, v62 offset:13608
	ds_read2_b32 v[7:8], v81 offset0:4 offset1:247
	ds_read2_b32 v[22:23], v82 offset0:2 offset1:245
	;; [unrolled: 1-line block ×3, first 2 shown]
	v_lshlrev_b64 v[9:10], 2, v[34:35]
	v_mov_b32_e32 v37, v30
	v_add_co_u32 v28, vcc_lo, s0, v9
	v_add_co_ci_u32_e32 v29, vcc_lo, s1, v10, vcc_lo
	ds_read2_b32 v[9:10], v84 offset0:6 offset1:249
	v_lshlrev_b64 v[24:25], 2, v[36:37]
	s_waitcnt lgkmcnt(7)
	v_lshrrev_b32_e32 v48, 16, v2
	s_waitcnt lgkmcnt(6)
	v_lshrrev_b32_e32 v30, 16, v4
	;; [unrolled: 2-line block ×5, first 2 shown]
	v_mul_f16_sdwa v35, v15, v11 dst_sel:DWORD dst_unused:UNUSED_PAD src0_sel:WORD_1 src1_sel:DWORD
	v_lshrrev_b32_e32 v37, 16, v8
	v_mul_f16_sdwa v38, v20, v5 dst_sel:DWORD dst_unused:UNUSED_PAD src0_sel:WORD_1 src1_sel:DWORD
	v_mul_f16_sdwa v39, v21, v8 dst_sel:DWORD dst_unused:UNUSED_PAD src0_sel:WORD_1 src1_sel:DWORD
	s_waitcnt lgkmcnt(2)
	v_lshrrev_b32_e32 v40, 16, v22
	v_lshrrev_b32_e32 v41, 16, v23
	v_mul_f16_sdwa v42, v18, v23 dst_sel:DWORD dst_unused:UNUSED_PAD src0_sel:WORD_1 src1_sel:DWORD
	v_mul_f16_sdwa v43, v19, v7 dst_sel:DWORD dst_unused:UNUSED_PAD src0_sel:WORD_1 src1_sel:DWORD
	s_waitcnt lgkmcnt(1)
	v_lshrrev_b32_e32 v44, 16, v26
	v_lshrrev_b32_e32 v45, 16, v27
	v_mul_f16_sdwa v46, v16, v22 dst_sel:DWORD dst_unused:UNUSED_PAD src0_sel:WORD_1 src1_sel:DWORD
	v_mul_f16_sdwa v47, v17, v27 dst_sel:DWORD dst_unused:UNUSED_PAD src0_sel:WORD_1 src1_sel:DWORD
	;; [unrolled: 1-line block ×3, first 2 shown]
	v_lshrrev_b32_e32 v31, 16, v6
	v_mul_f16_sdwa v33, v14, v6 dst_sel:DWORD dst_unused:UNUSED_PAD src0_sel:WORD_1 src1_sel:DWORD
	v_mul_f16_sdwa v50, v13, v26 dst_sel:DWORD dst_unused:UNUSED_PAD src0_sel:WORD_1 src1_sel:DWORD
	;; [unrolled: 1-line block ×3, first 2 shown]
	v_fma_f16 v32, v15, v32, -v35
	v_mul_f16_sdwa v35, v20, v36 dst_sel:DWORD dst_unused:UNUSED_PAD src0_sel:WORD_1 src1_sel:DWORD
	v_mul_f16_sdwa v55, v21, v37 dst_sel:DWORD dst_unused:UNUSED_PAD src0_sel:WORD_1 src1_sel:DWORD
	v_fma_f16 v36, v20, v36, -v38
	v_mul_f16_sdwa v38, v19, v34 dst_sel:DWORD dst_unused:UNUSED_PAD src0_sel:WORD_1 src1_sel:DWORD
	v_fma_f16 v37, v21, v37, -v39
	;; [unrolled: 2-line block ×5, first 2 shown]
	v_fma_f16 v45, v17, v45, -v47
	v_mul_f16_sdwa v46, v13, v44 dst_sel:DWORD dst_unused:UNUSED_PAD src0_sel:WORD_1 src1_sel:DWORD
	v_fma_f16 v47, v12, v30, -v49
	v_mul_f16_sdwa v30, v12, v30 dst_sel:DWORD dst_unused:UNUSED_PAD src0_sel:WORD_1 src1_sel:DWORD
	v_fma_f16 v33, v14, v31, -v33
	s_waitcnt lgkmcnt(0)
	v_lshrrev_b32_e32 v51, 16, v9
	v_lshrrev_b32_e32 v52, 16, v10
	v_mul_f16_sdwa v31, v14, v31 dst_sel:DWORD dst_unused:UNUSED_PAD src0_sel:WORD_1 src1_sel:DWORD
	v_fma_f16 v44, v13, v44, -v50
	v_fmac_f16_e32 v43, v17, v27
	v_fmac_f16_e32 v46, v13, v26
	;; [unrolled: 1-line block ×3, first 2 shown]
	v_add_f16_e32 v17, v36, v37
	v_lshrrev_b32_e32 v53, 16, v3
	v_fmac_f16_e32 v35, v20, v5
	v_fmac_f16_e32 v38, v19, v7
	;; [unrolled: 1-line block ×4, first 2 shown]
	v_add_f16_e32 v20, v33, v32
	v_lshrrev_b32_e32 v0, 16, v1
	v_fmac_f16_e32 v54, v15, v11
	v_fmac_f16_e32 v31, v14, v6
	;; [unrolled: 1-line block ×3, first 2 shown]
	v_add_f16_e32 v6, v47, v44
	v_add_f16_e32 v7, v48, v40
	;; [unrolled: 1-line block ×5, first 2 shown]
	v_fmac_f16_e32 v52, -0.5, v17
	v_add_f16_e32 v17, v30, v46
	v_add_f16_e32 v14, v41, v34
	;; [unrolled: 1-line block ×3, first 2 shown]
	v_fmac_f16_e32 v53, -0.5, v20
	v_add_f16_e32 v20, v42, v43
	v_add_f16_e32 v26, v39, v38
	;; [unrolled: 1-line block ×3, first 2 shown]
	v_fmac_f16_e32 v0, -0.5, v6
	v_add_f16_e32 v6, v7, v45
	v_fmac_f16_e32 v48, -0.5, v11
	v_add_f16_e32 v7, v12, v34
	v_add_f16_e32 v11, v15, v37
	;; [unrolled: 1-line block ×3, first 2 shown]
	v_sub_f16_e32 v15, v30, v46
	v_add_f16_e32 v30, v35, v55
	v_sub_f16_e32 v4, v47, v44
	v_sub_f16_e32 v13, v41, v34
	;; [unrolled: 1-line block ×3, first 2 shown]
	v_add_f16_e32 v22, v9, v39
	v_add_f16_e32 v27, v10, v35
	;; [unrolled: 1-line block ×4, first 2 shown]
	v_fma_f16 v1, -0.5, v17, v1
	v_fmac_f16_e32 v51, -0.5, v14
	v_add_f16_e32 v14, v18, v32
	v_add_f16_e32 v18, v2, v42
	v_sub_f16_e32 v8, v40, v45
	v_sub_f16_e32 v21, v42, v43
	;; [unrolled: 1-line block ×3, first 2 shown]
	v_fmac_f16_e32 v2, -0.5, v20
	v_fma_f16 v9, -0.5, v26, v9
	v_sub_f16_e32 v16, v36, v37
	v_sub_f16_e32 v32, v35, v55
	v_fmac_f16_e32 v10, -0.5, v30
	v_add_f16_e32 v5, v5, v44
	v_sub_f16_e32 v31, v31, v54
	v_add_f16_e32 v12, v12, v46
	v_fmamk_f16 v35, v15, 0x3aee, v0
	v_add_f16_e32 v20, v22, v38
	v_add_f16_e32 v22, v27, v55
	;; [unrolled: 1-line block ×3, first 2 shown]
	v_fmac_f16_e32 v3, -0.5, v34
	v_fmamk_f16 v26, v4, 0xbaee, v1
	v_fmac_f16_e32 v0, 0xbaee, v15
	v_fmac_f16_e32 v1, 0x3aee, v4
	v_add_f16_e32 v15, v18, v43
	v_fmamk_f16 v18, v21, 0x3aee, v48
	v_fmac_f16_e32 v48, 0xbaee, v21
	v_fmamk_f16 v21, v23, 0x3aee, v51
	v_fmamk_f16 v4, v8, 0xbaee, v2
	v_fmac_f16_e32 v2, 0x3aee, v8
	v_fmamk_f16 v8, v13, 0xbaee, v9
	v_fmac_f16_e32 v51, 0xbaee, v23
	;; [unrolled: 2-line block ×3, first 2 shown]
	v_fmac_f16_e32 v9, 0x3aee, v13
	v_fmamk_f16 v13, v16, 0xbaee, v10
	v_fmac_f16_e32 v10, 0x3aee, v16
	v_fmamk_f16 v17, v31, 0x3aee, v53
	;; [unrolled: 2-line block ×3, first 2 shown]
	v_fmac_f16_e32 v3, 0x3aee, v19
	v_pack_b32_f16 v5, v12, v5
	v_pack_b32_f16 v12, v27, v14
	;; [unrolled: 1-line block ×15, first 2 shown]
	ds_write_b32 v62, v14 offset:4860
	ds_write_b32 v62, v0 offset:9720
	ds_write2_b32 v62, v5, v6 offset1:243
	ds_write2_b32 v82, v1, v4 offset0:2 offset1:245
	ds_write2_b32 v89, v2, v8 offset0:1 offset1:244
	;; [unrolled: 1-line block ×3, first 2 shown]
	ds_write_b32 v62, v10 offset:12636
	ds_write_b32 v62, v12 offset:3888
	ds_write2_b32 v83, v9, v13 offset0:8 offset1:251
	ds_write_b32 v62, v3 offset:13608
	s_waitcnt lgkmcnt(0)
	s_barrier
	buffer_gl0_inv
	ds_read2_b32 v[15:16], v62 offset1:243
	ds_read2_b32 v[4:5], v84 offset0:6 offset1:249
	ds_read2_b32 v[9:10], v82 offset0:2 offset1:245
	;; [unrolled: 1-line block ×5, first 2 shown]
	v_add_co_u32 v11, vcc_lo, v28, v24
	v_add_co_ci_u32_e32 v12, vcc_lo, v29, v25, vcc_lo
	v_add_co_u32 v13, vcc_lo, v11, s23
	v_add_co_ci_u32_e32 v14, vcc_lo, s28, v12, vcc_lo
	;; [unrolled: 2-line block ×3, first 2 shown]
	s_waitcnt lgkmcnt(5)
	v_lshrrev_b32_e32 v8, 16, v15
	v_mul_f16_sdwa v19, v71, v15 dst_sel:DWORD dst_unused:UNUSED_PAD src0_sel:WORD_1 src1_sel:DWORD
	s_waitcnt lgkmcnt(4)
	v_lshrrev_b32_e32 v20, 16, v5
	v_mul_f16_sdwa v22, v73, v5 dst_sel:DWORD dst_unused:UNUSED_PAD src0_sel:WORD_1 src1_sel:DWORD
	;; [unrolled: 3-line block ×3, first 2 shown]
	s_waitcnt lgkmcnt(2)
	v_lshrrev_b32_e32 v25, 16, v1
	v_lshrrev_b32_e32 v29, 16, v16
	v_mul_f16_sdwa v30, v72, v16 dst_sel:DWORD dst_unused:UNUSED_PAD src0_sel:WORD_1 src1_sel:DWORD
	s_waitcnt lgkmcnt(0)
	v_lshrrev_b32_e32 v31, 16, v2
	v_mul_f16_sdwa v32, v77, v2 dst_sel:DWORD dst_unused:UNUSED_PAD src0_sel:WORD_1 src1_sel:DWORD
	v_fma_f16 v19, v71, v8, -v19
	v_lshrrev_b32_e32 v27, 16, v6
	v_mul_f16_sdwa v28, v76, v6 dst_sel:DWORD dst_unused:UNUSED_PAD src0_sel:WORD_1 src1_sel:DWORD
	v_fma_f16 v22, v73, v20, -v22
	v_fma_f16 v24, v74, v23, -v24
	v_mul_f16_sdwa v33, v71, v8 dst_sel:DWORD dst_unused:UNUSED_PAD src0_sel:WORD_1 src1_sel:DWORD
	v_mul_f16_sdwa v34, v72, v29 dst_sel:DWORD dst_unused:UNUSED_PAD src0_sel:WORD_1 src1_sel:DWORD
	v_fma_f16 v8, v72, v29, -v30
	v_mul_f16_sdwa v29, v74, v23 dst_sel:DWORD dst_unused:UNUSED_PAD src0_sel:WORD_1 src1_sel:DWORD
	v_mul_f16_sdwa v30, v75, v25 dst_sel:DWORD dst_unused:UNUSED_PAD src0_sel:WORD_1 src1_sel:DWORD
	v_fma_f16 v23, v77, v31, -v32
	v_mul_f16_sdwa v31, v77, v31 dst_sel:DWORD dst_unused:UNUSED_PAD src0_sel:WORD_1 src1_sel:DWORD
	v_cvt_f32_f16_e32 v19, v19
	v_mul_f16_sdwa v26, v75, v1 dst_sel:DWORD dst_unused:UNUSED_PAD src0_sel:WORD_1 src1_sel:DWORD
	v_fma_f16 v28, v76, v27, -v28
	v_mul_f16_sdwa v20, v73, v20 dst_sel:DWORD dst_unused:UNUSED_PAD src0_sel:WORD_1 src1_sel:DWORD
	v_mul_f16_sdwa v27, v76, v27 dst_sel:DWORD dst_unused:UNUSED_PAD src0_sel:WORD_1 src1_sel:DWORD
	v_cvt_f32_f16_e32 v22, v22
	v_fmac_f16_e32 v30, v75, v1
	v_fmac_f16_e32 v31, v77, v2
	v_cvt_f64_f32_e32 v[1:2], v19
	v_fma_f16 v26, v75, v25, -v26
	v_cvt_f32_f16_e32 v24, v24
	v_fmac_f16_e32 v20, v73, v5
	v_fmac_f16_e32 v27, v76, v6
	v_cvt_f64_f32_e32 v[5:6], v22
	v_cvt_f32_f16_e32 v25, v26
	v_cvt_f32_f16_e32 v26, v28
	;; [unrolled: 1-line block ×3, first 2 shown]
	v_fmac_f16_e32 v29, v74, v9
	v_cvt_f64_f32_e32 v[8:9], v24
	v_fmac_f16_e32 v33, v71, v15
	v_fmac_f16_e32 v34, v72, v16
	v_cvt_f64_f32_e32 v[15:16], v25
	v_lshrrev_b32_e32 v21, 16, v10
	v_cvt_f32_f16_e32 v40, v31
	v_cvt_f32_f16_e32 v32, v23
	v_cvt_f64_f32_e32 v[22:23], v26
	v_cvt_f64_f32_e32 v[24:25], v28
	v_mul_f16_sdwa v46, v70, v21 dst_sel:DWORD dst_unused:UNUSED_PAD src0_sel:WORD_1 src1_sel:DWORD
	v_cvt_f64_f32_e32 v[40:41], v40
	v_cvt_f32_f16_e32 v19, v33
	v_mul_f64 v[42:43], v[1:2], s[26:27]
	v_cvt_f32_f16_e32 v36, v27
	v_fmac_f16_e32 v46, v70, v10
	v_cvt_f64_f32_e32 v[26:27], v32
	v_cvt_f32_f16_e32 v33, v29
	v_mul_f64 v[44:45], v[5:6], s[26:27]
	v_cvt_f64_f32_e32 v[28:29], v19
	v_cvt_f32_f16_e32 v19, v46
	v_cvt_f32_f16_e32 v20, v20
	;; [unrolled: 1-line block ×3, first 2 shown]
	v_mul_f64 v[46:47], v[8:9], s[26:27]
	v_add_co_u32 v1, vcc_lo, v17, s23
	v_mul_f64 v[48:49], v[15:16], s[26:27]
	v_cvt_f64_f32_e32 v[30:31], v20
	v_add_co_ci_u32_e32 v2, vcc_lo, s28, v18, vcc_lo
	v_mul_f64 v[22:23], v[22:23], s[26:27]
	v_cvt_f64_f32_e32 v[32:33], v33
	v_add_co_u32 v5, vcc_lo, v1, s23
	v_mul_f64 v[15:16], v[40:41], s[26:27]
	v_and_or_b32 v40, 0x1ff, v43, v42
	v_mul_f64 v[50:51], v[24:25], s[26:27]
	v_add_co_ci_u32_e32 v6, vcc_lo, s28, v2, vcc_lo
	v_cvt_f32_f16_e32 v38, v34
	v_and_or_b32 v44, 0x1ff, v45, v44
	v_cmp_ne_u32_e32 vcc_lo, 0, v40
	v_cvt_f64_f32_e32 v[34:35], v35
	v_mul_f64 v[8:9], v[26:27], s[26:27]
	v_cvt_f64_f32_e32 v[36:37], v36
	v_and_or_b32 v46, 0x1ff, v47, v46
	v_cndmask_b32_e64 v40, 0, 1, vcc_lo
	v_cmp_ne_u32_e32 vcc_lo, 0, v44
	v_mul_f64 v[52:53], v[28:29], s[26:27]
	v_and_or_b32 v48, 0x1ff, v49, v48
	v_cvt_f64_f32_e32 v[38:39], v38
	v_mul_f64 v[30:31], v[30:31], s[26:27]
	v_cndmask_b32_e64 v44, 0, 1, vcc_lo
	v_cmp_ne_u32_e32 vcc_lo, 0, v46
	v_and_or_b32 v60, 0x1ff, v23, v22
	v_mul_f64 v[32:33], v[32:33], s[26:27]
	v_lshrrev_b32_e32 v41, 8, v43
	v_bfe_u32 v42, v43, 20, 11
	v_cndmask_b32_e64 v46, 0, 1, vcc_lo
	v_cmp_ne_u32_e32 vcc_lo, 0, v48
	v_and_or_b32 v50, 0x1ff, v51, v50
	v_lshrrev_b32_e32 v29, 16, v43
	v_lshrrev_b32_e32 v61, 8, v23
	v_bfe_u32 v71, v23, 20, 11
	v_cndmask_b32_e64 v48, 0, 1, vcc_lo
	v_cmp_ne_u32_e32 vcc_lo, 0, v60
	v_mul_f64 v[34:35], v[34:35], s[26:27]
	v_and_or_b32 v43, 0x1ff, v9, v8
	v_mul_f64 v[36:37], v[36:37], s[26:27]
	v_lshrrev_b32_e32 v25, 16, v23
	v_cndmask_b32_e64 v60, 0, 1, vcc_lo
	v_cmp_ne_u32_e32 vcc_lo, 0, v50
	v_and_or_b32 v52, 0x1ff, v53, v52
	v_mul_f64 v[38:39], v[38:39], s[26:27]
	v_and_or_b32 v30, 0x1ff, v31, v30
	v_lshrrev_b32_e32 v54, 8, v45
	v_cndmask_b32_e64 v50, 0, 1, vcc_lo
	v_cmp_ne_u32_e32 vcc_lo, 0, v43
	v_and_or_b32 v32, 0x1ff, v33, v32
	v_bfe_u32 v80, v31, 20, 11
	v_and_or_b32 v40, 0xffe, v41, v40
	v_bfe_u32 v55, v45, 20, 11
	v_cndmask_b32_e64 v43, 0, 1, vcc_lo
	v_cmp_ne_u32_e32 vcc_lo, 0, v52
	v_lshrrev_b32_e32 v56, 8, v47
	v_lshrrev_b32_e32 v28, 16, v45
	v_sub_nc_u32_e32 v45, 0x3f1, v42
	v_lshrrev_b32_e32 v76, 8, v53
	v_cndmask_b32_e64 v52, 0, 1, vcc_lo
	v_cmp_ne_u32_e32 vcc_lo, 0, v30
	v_and_or_b32 v34, 0x1ff, v35, v34
	v_and_or_b32 v36, 0x1ff, v37, v36
	v_bfe_u32 v82, v33, 20, 11
	v_add_nc_u32_e32 v42, 0xfffffc10, v42
	v_cndmask_b32_e64 v30, 0, 1, vcc_lo
	v_cmp_ne_u32_e32 vcc_lo, 0, v32
	v_and_or_b32 v38, 0x1ff, v39, v38
	v_lshrrev_b32_e32 v87, 8, v39
	v_bfe_u32 v88, v39, 20, 11
	v_lshrrev_b32_e32 v23, 16, v39
	v_cndmask_b32_e64 v32, 0, 1, vcc_lo
	v_cmp_ne_u32_e32 vcc_lo, 0, v34
	v_and_or_b32 v39, 0x1ff, v16, v15
	v_sub_nc_u32_e32 v91, 0x3f1, v80
	v_and_or_b32 v41, 0xffe, v54, v44
	v_bfe_u32 v57, v47, 20, 11
	v_cndmask_b32_e64 v34, 0, 1, vcc_lo
	v_cmp_ne_u32_e32 vcc_lo, 0, v36
	v_lshrrev_b32_e32 v58, 8, v49
	v_lshrrev_b32_e32 v27, 16, v47
	v_sub_nc_u32_e32 v47, 0x3f1, v55
	v_lshrrev_b32_e32 v78, 8, v31
	v_cndmask_b32_e64 v36, 0, 1, vcc_lo
	v_cmp_ne_u32_e32 vcc_lo, 0, v38
	v_bfe_u32 v84, v35, 20, 11
	v_add_nc_u32_e32 v55, 0xfffffc10, v55
	v_sub_nc_u32_e32 v92, 0x3f1, v82
	v_and_or_b32 v44, 0xffe, v56, v46
	v_cndmask_b32_e64 v38, 0, 1, vcc_lo
	v_cmp_ne_u32_e32 vcc_lo, 0, v39
	v_med3_i32 v56, v91, 0, 13
	v_or_b32_e32 v91, 0x1000, v40
	v_and_or_b32 v52, 0xffe, v76, v52
	v_lshl_or_b32 v76, v42, 12, v40
	v_cndmask_b32_e64 v39, 0, 1, vcc_lo
	v_cmp_ne_u32_e32 vcc_lo, 0, v40
	v_bfe_u32 v59, v49, 20, 11
	v_lshrrev_b32_e32 v26, 16, v49
	v_sub_nc_u32_e32 v49, 0x3f1, v57
	v_lshrrev_b32_e32 v81, 8, v33
	v_cndmask_b32_e64 v40, 0, 1, vcc_lo
	v_cmp_ne_u32_e32 vcc_lo, 0, v41
	v_bfe_u32 v86, v37, 20, 11
	v_add_nc_u32_e32 v57, 0xfffffc10, v57
	v_sub_nc_u32_e32 v93, 0x3f1, v84
	v_and_or_b32 v46, 0xffe, v58, v48
	v_med3_i32 v58, v92, 0, 13
	v_or_b32_e32 v92, 0x1000, v41
	v_and_or_b32 v30, 0xffe, v78, v30
	v_lshl_or_b32 v78, v55, 12, v41
	v_cndmask_b32_e64 v41, 0, 1, vcc_lo
	v_cmp_ne_u32_e32 vcc_lo, 0, v44
	v_lshrrev_b32_e32 v72, 8, v51
	v_bfe_u32 v73, v51, 20, 11
	v_lshrrev_b32_e32 v22, 16, v51
	v_sub_nc_u32_e32 v51, 0x3f1, v59
	v_lshrrev_b32_e32 v83, 8, v35
	v_add_nc_u32_e32 v59, 0xfffffc10, v59
	v_sub_nc_u32_e32 v94, 0x3f1, v86
	v_and_or_b32 v48, 0xffe, v61, v60
	v_med3_i32 v60, v93, 0, 13
	v_or_b32_e32 v93, 0x1000, v44
	v_and_or_b32 v32, 0xffe, v81, v32
	v_lshl_or_b32 v81, v57, 12, v44
	v_cndmask_b32_e64 v44, 0, 1, vcc_lo
	v_cmp_ne_u32_e32 vcc_lo, 0, v46
	v_sub_nc_u32_e32 v74, 0x3f1, v71
	v_bfe_u32 v77, v53, 20, 11
	v_lshrrev_b32_e32 v85, 8, v37
	v_add_nc_u32_e32 v71, 0xfffffc10, v71
	v_bfe_u32 v15, v16, 20, 11
	v_sub_nc_u32_e32 v95, 0x3f1, v88
	v_and_or_b32 v50, 0xffe, v72, v50
	v_med3_i32 v61, v94, 0, 13
	v_or_b32_e32 v94, 0x1000, v46
	v_and_or_b32 v34, 0xffe, v83, v34
	v_lshl_or_b32 v83, v59, 12, v46
	v_cndmask_b32_e64 v46, 0, 1, vcc_lo
	v_cmp_ne_u32_e32 vcc_lo, 0, v48
	v_sub_nc_u32_e32 v75, 0x3f1, v73
	v_add_nc_u32_e32 v73, 0xfffffc10, v73
	v_sub_nc_u32_e32 v90, 0x3f1, v77
	v_sub_nc_u32_e32 v96, 0x3f1, v15
	v_med3_i32 v72, v95, 0, 13
	v_or_b32_e32 v95, 0x1000, v48
	v_and_or_b32 v36, 0xffe, v85, v36
	v_lshl_or_b32 v85, v71, 12, v48
	v_cndmask_b32_e64 v48, 0, 1, vcc_lo
	v_cmp_ne_u32_e32 vcc_lo, 0, v50
	v_add_nc_u32_e32 v80, 0xfffffc10, v80
	v_med3_i32 v54, v90, 0, 13
	v_med3_i32 v90, v96, 0, 13
	v_or_b32_e32 v96, 0x1000, v50
	v_and_or_b32 v38, 0xffe, v87, v38
	v_lshl_or_b32 v87, v73, 12, v50
	v_cndmask_b32_e64 v50, 0, 1, vcc_lo
	v_cmp_ne_u32_e32 vcc_lo, 0, v30
	v_add_nc_u32_e32 v84, 0xfffffc10, v84
	v_or_b32_e32 v103, 0x1000, v30
	v_lshl_or_b32 v109, v80, 12, v30
	v_add_nc_u32_e32 v77, 0xfffffc10, v77
	v_cndmask_b32_e64 v30, 0, 1, vcc_lo
	v_cmp_ne_u32_e32 vcc_lo, 0, v34
	v_or_b32_e32 v105, 0x1000, v34
	v_lshl_or_b32 v111, v84, 12, v34
	v_lshrrev_b32_e32 v89, 8, v16
	v_med3_i32 v45, v45, 0, 13
	v_cndmask_b32_e64 v34, 0, 1, vcc_lo
	v_cmp_ne_u32_e32 vcc_lo, 0, v52
	v_add_nc_u32_e32 v82, 0xfffffc10, v82
	v_or_b32_e32 v102, 0x1000, v52
	v_lshl_or_b32 v108, v77, 12, v52
	v_med3_i32 v47, v47, 0, 13
	v_cndmask_b32_e64 v52, 0, 1, vcc_lo
	v_cmp_ne_u32_e32 vcc_lo, 0, v32
	v_add_nc_u32_e32 v86, 0xfffffc10, v86
	v_and_or_b32 v39, 0xffe, v89, v39
	v_lshrrev_b32_e32 v89, v45, v91
	v_or_b32_e32 v104, 0x1000, v32
	v_lshl_or_b32 v110, v82, 12, v32
	v_cndmask_b32_e64 v32, 0, 1, vcc_lo
	v_cmp_ne_u32_e32 vcc_lo, 0, v36
	v_med3_i32 v49, v49, 0, 13
	v_add_nc_u32_e32 v88, 0xfffffc10, v88
	v_lshrrev_b32_e32 v97, v47, v92
	v_or_b32_e32 v106, 0x1000, v36
	v_lshl_or_b32 v112, v86, 12, v36
	v_cndmask_b32_e64 v36, 0, 1, vcc_lo
	v_cmp_ne_u32_e32 vcc_lo, 0, v38
	v_lshlrev_b32_e32 v45, v45, v89
	v_med3_i32 v51, v51, 0, 13
	v_lshrrev_b32_e32 v98, v49, v93
	v_or_b32_e32 v107, 0x1000, v38
	v_lshl_or_b32 v113, v88, 12, v38
	v_cndmask_b32_e64 v38, 0, 1, vcc_lo
	v_lshlrev_b32_e32 v47, v47, v97
	v_cmp_ne_u32_e32 vcc_lo, v45, v91
	v_med3_i32 v74, v74, 0, 13
	v_lshrrev_b32_e32 v99, v51, v94
	v_lshlrev_b32_e32 v49, v49, v98
	v_med3_i32 v75, v75, 0, 13
	v_cndmask_b32_e64 v45, 0, 1, vcc_lo
	v_cmp_ne_u32_e32 vcc_lo, v47, v92
	v_lshrrev_b32_e32 v100, v74, v95
	v_lshlrev_b32_e32 v51, v51, v99
	v_lshrrev_b32_e32 v101, v75, v96
	v_lshrrev_b32_e32 v116, v54, v102
	v_cndmask_b32_e64 v47, 0, 1, vcc_lo
	v_cmp_ne_u32_e32 vcc_lo, v49, v93
	v_lshlrev_b32_e32 v74, v74, v100
	v_lshlrev_b32_e32 v75, v75, v101
	v_lshrrev_b32_e32 v117, v56, v103
	v_lshlrev_b32_e32 v54, v54, v116
	v_cndmask_b32_e64 v49, 0, 1, vcc_lo
	v_cmp_ne_u32_e32 vcc_lo, v51, v94
	v_lshrrev_b32_e32 v118, v58, v104
	v_lshlrev_b32_e32 v56, v56, v117
	v_lshrrev_b32_e32 v119, v60, v105
	v_lshrrev_b32_e32 v120, v61, v106
	v_cndmask_b32_e64 v51, 0, 1, vcc_lo
	v_cmp_ne_u32_e32 vcc_lo, v74, v95
	v_lshlrev_b32_e32 v58, v58, v118
	v_lshlrev_b32_e32 v60, v60, v119
	v_or_b32_e32 v114, 0x1000, v39
	v_lshrrev_b32_e32 v121, v72, v107
	v_cndmask_b32_e64 v74, 0, 1, vcc_lo
	v_cmp_ne_u32_e32 vcc_lo, v75, v96
	v_lshlrev_b32_e32 v61, v61, v120
	v_lshrrev_b32_e32 v122, v90, v114
	v_lshlrev_b32_e32 v72, v72, v121
	v_or_b32_e32 v45, v89, v45
	v_cndmask_b32_e64 v75, 0, 1, vcc_lo
	v_cmp_ne_u32_e32 vcc_lo, v54, v102
	v_lshlrev_b32_e32 v90, v90, v122
	v_or_b32_e32 v47, v97, v47
	v_or_b32_e32 v49, v98, v49
	;; [unrolled: 1-line block ×3, first 2 shown]
	v_cndmask_b32_e64 v54, 0, 1, vcc_lo
	v_cmp_ne_u32_e32 vcc_lo, v56, v103
	v_or_b32_e32 v74, v100, v74
	v_or_b32_e32 v75, v101, v75
	v_lshl_or_b32 v40, v40, 9, 0x7c00
	v_or_b32_e32 v54, v116, v54
	v_cndmask_b32_e64 v56, 0, 1, vcc_lo
	v_cmp_ne_u32_e32 vcc_lo, v58, v104
	v_lshl_or_b32 v41, v41, 9, 0x7c00
	v_lshl_or_b32 v44, v44, 9, 0x7c00
	v_lshl_or_b32 v46, v46, 9, 0x7c00
	v_or_b32_e32 v56, v117, v56
	v_cndmask_b32_e64 v58, 0, 1, vcc_lo
	v_cmp_ne_u32_e32 vcc_lo, v60, v105
	v_lshl_or_b32 v48, v48, 9, 0x7c00
	v_lshl_or_b32 v50, v50, 9, 0x7c00
	;; [unrolled: 6-line block ×3, first 2 shown]
	v_cvt_f64_f32_e32 v[19:20], v19
	v_or_b32_e32 v60, v119, v60
	v_cndmask_b32_e64 v61, 0, 1, vcc_lo
	v_cmp_ne_u32_e32 vcc_lo, v72, v107
	v_lshrrev_b32_e32 v53, 16, v53
	v_lshl_or_b32 v34, v34, 9, 0x7c00
	v_lshrrev_b32_e32 v31, 16, v31
	v_or_b32_e32 v61, v120, v61
	v_cndmask_b32_e64 v72, 0, 1, vcc_lo
	v_cmp_ne_u32_e32 vcc_lo, v90, v114
	v_lshrrev_b32_e32 v33, 16, v33
	v_lshrrev_b32_e32 v35, 16, v35
	v_lshl_or_b32 v36, v36, 9, 0x7c00
	v_or_b32_e32 v72, v121, v72
	v_cndmask_b32_e64 v89, 0, 1, vcc_lo
	v_cmp_gt_i32_e32 vcc_lo, 1, v42
	v_add_nc_u32_e32 v15, 0xfffffc10, v15
	v_lshl_or_b32 v38, v38, 9, 0x7c00
	v_lshrrev_b32_e32 v24, 8, v9
	v_bfe_u32 v8, v9, 20, 11
	v_cndmask_b32_e32 v45, v76, v45, vcc_lo
	v_cmp_gt_i32_e32 vcc_lo, 1, v55
	v_or_b32_e32 v76, v122, v89
	v_lshl_or_b32 v115, v15, 12, v39
	v_and_or_b32 v24, 0xffe, v24, v43
	v_mul_f16_sdwa v10, v70, v10 dst_sel:DWORD dst_unused:UNUSED_PAD src0_sel:WORD_1 src1_sel:DWORD
	v_cndmask_b32_e32 v47, v78, v47, vcc_lo
	v_cmp_gt_i32_e32 vcc_lo, 1, v57
	v_and_b32_e32 v78, 7, v45
	v_lshrrev_b32_e32 v45, 2, v45
	v_fma_f16 v10, v70, v21, -v10
	v_lshrrev_b32_e32 v16, 16, v16
	v_cndmask_b32_e32 v49, v81, v49, vcc_lo
	v_cmp_gt_i32_e32 vcc_lo, 1, v59
	v_and_b32_e32 v81, 7, v47
	v_cmp_eq_u32_e64 s0, 3, v78
	v_lshrrev_b32_e32 v47, 2, v47
	v_lshrrev_b32_e32 v37, 16, v37
	v_cndmask_b32_e32 v51, v83, v51, vcc_lo
	v_cmp_gt_i32_e32 vcc_lo, 1, v71
	v_and_b32_e32 v83, 7, v49
	v_cmp_lt_i32_e64 s1, 5, v81
	v_cmp_eq_u32_e64 s2, 3, v81
	v_lshrrev_b32_e32 v49, 2, v49
	v_cndmask_b32_e32 v74, v85, v74, vcc_lo
	v_cmp_gt_i32_e32 vcc_lo, 1, v73
	v_and_b32_e32 v85, 7, v51
	v_cmp_lt_i32_e64 s3, 5, v83
	v_cmp_eq_u32_e64 s4, 3, v83
	;; [unrolled: 6-line block ×3, first 2 shown]
	v_and_b32_e32 v89, 7, v75
	v_cndmask_b32_e32 v54, v108, v54, vcc_lo
	v_cmp_gt_i32_e32 vcc_lo, 1, v80
	v_cmp_lt_i32_e64 s7, 5, v87
	v_cmp_eq_u32_e64 s8, 3, v87
	v_lshrrev_b32_e32 v74, 2, v74
	v_cmp_lt_i32_e64 s9, 5, v89
	v_cndmask_b32_e32 v56, v109, v56, vcc_lo
	v_cmp_gt_i32_e32 vcc_lo, 1, v82
	v_cmp_eq_u32_e64 s10, 3, v89
	v_lshrrev_b32_e32 v75, 2, v75
	v_and_b32_e32 v81, 7, v56
	v_cndmask_b32_e32 v58, v110, v58, vcc_lo
	v_cmp_gt_i32_e32 vcc_lo, 1, v84
	v_lshrrev_b32_e32 v56, 2, v56
	v_cmp_lt_i32_e64 s13, 5, v81
	v_cmp_eq_u32_e64 s14, 3, v81
	v_cndmask_b32_e32 v60, v111, v60, vcc_lo
	v_cmp_gt_i32_e32 vcc_lo, 1, v86
	v_and_b32_e32 v83, 7, v58
	v_lshrrev_b32_e32 v58, 2, v58
	v_and_b32_e32 v85, 7, v60
	v_cndmask_b32_e32 v61, v112, v61, vcc_lo
	v_cmp_gt_i32_e32 vcc_lo, 1, v88
	v_lshrrev_b32_e32 v60, 2, v60
	v_cmp_lt_i32_e64 s15, 5, v83
	v_cmp_lt_i32_e64 s17, 5, v85
	v_cmp_eq_u32_e64 s18, 3, v85
	v_cndmask_b32_e32 v72, v113, v72, vcc_lo
	v_cmp_lt_i32_e32 vcc_lo, 5, v78
	v_and_b32_e32 v78, 7, v54
	v_and_b32_e32 v87, 7, v61
	v_lshrrev_b32_e32 v54, 2, v54
	v_cmp_eq_u32_e64 s16, 3, v83
	s_or_b32 vcc_lo, s0, vcc_lo
	v_cmp_lt_i32_e64 s11, 5, v78
	v_add_co_ci_u32_e32 v45, vcc_lo, 0, v45, vcc_lo
	s_or_b32 vcc_lo, s2, s1
	v_cmp_eq_u32_e64 s12, 3, v78
	v_add_co_ci_u32_e32 v47, vcc_lo, 0, v47, vcc_lo
	s_or_b32 vcc_lo, s4, s3
	v_and_b32_e32 v89, 7, v72
	v_add_co_ci_u32_e32 v49, vcc_lo, 0, v49, vcc_lo
	s_or_b32 vcc_lo, s6, s5
	v_cmp_lt_i32_e64 s19, 5, v87
	v_add_co_ci_u32_e32 v51, vcc_lo, 0, v51, vcc_lo
	s_or_b32 vcc_lo, s8, s7
	v_cmp_eq_u32_e64 s20, 3, v87
	v_add_co_ci_u32_e32 v74, vcc_lo, 0, v74, vcc_lo
	s_or_b32 vcc_lo, s10, s9
	v_lshrrev_b32_e32 v61, 2, v61
	v_add_co_ci_u32_e32 v75, vcc_lo, 0, v75, vcc_lo
	v_cmp_gt_i32_e32 vcc_lo, 31, v42
	v_cmp_lt_i32_e64 s21, 5, v89
	v_cmp_eq_u32_e64 s22, 3, v89
	v_lshrrev_b32_e32 v72, 2, v72
	v_cndmask_b32_e32 v45, 0x7c00, v45, vcc_lo
	s_or_b32 vcc_lo, s14, s13
	v_add_co_ci_u32_e32 v56, vcc_lo, 0, v56, vcc_lo
	v_cmp_gt_i32_e32 vcc_lo, 31, v55
	v_cndmask_b32_e32 v47, 0x7c00, v47, vcc_lo
	v_cmp_gt_i32_e32 vcc_lo, 31, v57
	v_cndmask_b32_e32 v49, 0x7c00, v49, vcc_lo
	s_or_b32 vcc_lo, s18, s17
	v_add_co_ci_u32_e32 v60, vcc_lo, 0, v60, vcc_lo
	v_cmp_gt_i32_e32 vcc_lo, 31, v59
	v_cndmask_b32_e32 v51, 0x7c00, v51, vcc_lo
	v_cmp_gt_i32_e32 vcc_lo, 31, v71
	v_cndmask_b32_e32 v74, 0x7c00, v74, vcc_lo
	s_or_b32 vcc_lo, s12, s11
	v_add_co_ci_u32_e32 v54, vcc_lo, 0, v54, vcc_lo
	s_or_b32 vcc_lo, s16, s15
	v_add_co_ci_u32_e32 v58, vcc_lo, 0, v58, vcc_lo
	;; [unrolled: 2-line block ×4, first 2 shown]
	v_cmp_gt_i32_e32 vcc_lo, 31, v73
	v_cndmask_b32_e32 v75, 0x7c00, v75, vcc_lo
	v_cmp_eq_u32_e32 vcc_lo, 0x40f, v42
	v_cndmask_b32_e32 v40, v45, v40, vcc_lo
	v_cmp_gt_i32_e32 vcc_lo, 31, v80
	v_and_or_b32 v29, 0x8000, v29, v40
	v_cndmask_b32_e32 v42, 0x7c00, v56, vcc_lo
	v_cmp_eq_u32_e32 vcc_lo, 0x40f, v55
	v_cndmask_b32_e32 v41, v47, v41, vcc_lo
	v_cmp_eq_u32_e32 vcc_lo, 0x40f, v57
	v_and_or_b32 v28, 0x8000, v28, v41
	v_cndmask_b32_e32 v44, v49, v44, vcc_lo
	v_cmp_gt_i32_e32 vcc_lo, 31, v84
	v_and_or_b32 v27, 0x8000, v27, v44
	v_cndmask_b32_e32 v45, 0x7c00, v60, vcc_lo
	v_cmp_eq_u32_e32 vcc_lo, 0x40f, v59
	v_cndmask_b32_e32 v46, v51, v46, vcc_lo
	v_cmp_eq_u32_e32 vcc_lo, 0x40f, v71
	v_and_or_b32 v26, 0x8000, v26, v46
	v_cndmask_b32_e32 v47, v74, v48, vcc_lo
	v_cmp_gt_i32_e32 vcc_lo, 31, v77
	v_and_or_b32 v25, 0x8000, v25, v47
	v_cndmask_b32_e32 v48, 0x7c00, v54, vcc_lo
	v_cmp_gt_i32_e32 vcc_lo, 31, v82
	v_cndmask_b32_e32 v49, 0x7c00, v58, vcc_lo
	v_cmp_gt_i32_e32 vcc_lo, 31, v86
	;; [unrolled: 2-line block ×3, first 2 shown]
	v_cndmask_b32_e32 v54, 0x7c00, v72, vcc_lo
	v_cmp_eq_u32_e32 vcc_lo, 0x40f, v73
	v_cndmask_b32_e32 v50, v75, v50, vcc_lo
	v_cmp_eq_u32_e32 vcc_lo, 0x40f, v77
	;; [unrolled: 2-line block ×3, first 2 shown]
	v_and_or_b32 v40, 0x8000, v53, v48
	v_cndmask_b32_e32 v30, v42, v30, vcc_lo
	v_cmp_eq_u32_e32 vcc_lo, 0x40f, v82
	v_and_or_b32 v30, 0x8000, v31, v30
	v_cndmask_b32_e32 v32, v49, v32, vcc_lo
	v_cmp_eq_u32_e32 vcc_lo, 0x40f, v84
	v_and_b32_e32 v30, 0xffff, v30
	v_and_or_b32 v31, 0x8000, v33, v32
	v_cndmask_b32_e32 v34, v45, v34, vcc_lo
	v_cmp_eq_u32_e32 vcc_lo, 0x40f, v86
	v_lshl_or_b32 v28, v28, 16, v30
	v_and_b32_e32 v31, 0xffff, v31
	v_and_or_b32 v32, 0x8000, v35, v34
	v_and_b32_e32 v34, 0xffff, v40
	v_cndmask_b32_e32 v36, v51, v36, vcc_lo
	v_cmp_eq_u32_e32 vcc_lo, 0x40f, v88
	v_lshl_or_b32 v27, v27, 16, v31
	v_and_b32_e32 v32, 0xffff, v32
	v_lshl_or_b32 v29, v29, 16, v34
	global_store_dword v[11:12], v29, off
	global_store_dword v[13:14], v28, off
	v_mul_f64 v[11:12], v[19:20], s[26:27]
	v_cndmask_b32_e32 v38, v54, v38, vcc_lo
	v_cmp_gt_i32_e32 vcc_lo, 1, v15
	v_sub_nc_u32_e32 v13, 0x3f1, v8
	v_lshl_or_b32 v26, v26, 16, v32
	v_or_b32_e32 v19, 0x1000, v24
	v_and_or_b32 v14, 0x8000, v23, v38
	v_cndmask_b32_e32 v20, v115, v76, vcc_lo
	v_med3_i32 v13, v13, 0, 13
	global_store_dword v[17:18], v27, off
	v_and_or_b32 v17, 0x8000, v22, v50
	v_and_b32_e32 v14, 0xffff, v14
	v_and_b32_e32 v18, 7, v20
	v_lshrrev_b32_e32 v21, v13, v19
	global_store_dword v[1:2], v26, off
	v_cvt_f32_f16_e32 v1, v10
	v_lshl_or_b32 v22, v17, 16, v14
	v_cmp_lt_i32_e32 vcc_lo, 5, v18
	v_cmp_eq_u32_e64 s0, 3, v18
	v_lshlrev_b32_e32 v2, v13, v21
	v_cvt_f64_f32_e32 v[13:14], v1
	v_lshrrev_b32_e32 v1, 2, v20
	v_and_or_b32 v10, 0x1ff, v12, v11
	s_or_b32 vcc_lo, s0, vcc_lo
	v_cmp_ne_u32_e64 s1, v2, v19
	v_add_nc_u32_e32 v8, 0xfffffc10, v8
	v_add_co_ci_u32_e32 v19, vcc_lo, 0, v1, vcc_lo
	v_cmp_ne_u32_e32 vcc_lo, 0, v10
	v_cndmask_b32_e64 v2, 0, 1, s1
	v_lshrrev_b32_e32 v11, 8, v12
	v_lshl_or_b32 v23, v8, 12, v24
	s_mul_i32 s0, s25, 0xffffd63c
	v_cndmask_b32_e64 v10, 0, 1, vcc_lo
	v_cmp_ne_u32_e32 vcc_lo, 0, v39
	v_or_b32_e32 v20, v21, v2
	ds_read2_b32 v[1:2], v79 offset0:6 offset1:249
	v_bfe_u32 v21, v12, 20, 11
	v_and_or_b32 v27, 0xffe, v11, v10
	v_cndmask_b32_e64 v26, 0, 1, vcc_lo
	v_cmp_gt_i32_e32 vcc_lo, 31, v15
	s_sub_i32 s2, s0, s24
	v_mul_f64 v[10:11], v[13:14], s[26:27]
	v_sub_nc_u32_e32 v28, 0x3f1, v21
	v_and_or_b32 v33, 0x8000, v37, v36
	v_cndmask_b32_e32 v13, 0x7c00, v19, vcc_lo
	v_cmp_gt_i32_e32 vcc_lo, 1, v8
	v_or_b32_e32 v19, 0x1000, v27
	v_mad_u64_u32 v[17:18], null, 0xffffd63c, s24, v[5:6]
	v_and_b32_e32 v33, 0xffff, v33
	v_cndmask_b32_e32 v14, v23, v20, vcc_lo
	v_med3_i32 v20, v28, 0, 13
	v_lshl_or_b32 v23, v26, 9, 0x7c00
	v_cmp_eq_u32_e32 vcc_lo, 0x40f, v15
	v_lshrrev_b32_e32 v12, 16, v12
	v_and_b32_e32 v26, 7, v14
	v_lshrrev_b32_e32 v28, v20, v19
	s_waitcnt lgkmcnt(0)
	v_lshrrev_b32_e32 v29, 16, v1
	v_cndmask_b32_e32 v15, v13, v23, vcc_lo
	v_lshrrev_b32_e32 v14, 2, v14
	v_cmp_lt_i32_e32 vcc_lo, 5, v26
	v_cmp_eq_u32_e64 s0, 3, v26
	v_lshlrev_b32_e32 v20, v20, v28
	v_mul_f16_sdwa v13, v69, v29 dst_sel:DWORD dst_unused:UNUSED_PAD src0_sel:WORD_1 src1_sel:DWORD
	v_and_or_b32 v10, 0x1ff, v11, v10
	v_and_or_b32 v31, 0x8000, v16, v15
	s_or_b32 vcc_lo, s0, vcc_lo
	v_lshl_or_b32 v25, v25, 16, v33
	v_add_co_ci_u32_e32 v23, vcc_lo, 0, v14, vcc_lo
	v_cmp_ne_u32_e32 vcc_lo, v20, v19
	v_fmac_f16_e32 v13, v69, v1
	v_add_nc_u32_e32 v19, 0xfffffc10, v21
	v_lshrrev_b32_e32 v20, 8, v11
	v_bfe_u32 v21, v11, 20, 11
	v_cndmask_b32_e64 v14, 0, 1, vcc_lo
	v_cmp_ne_u32_e32 vcc_lo, 0, v10
	v_cvt_f32_f16_e32 v13, v13
	v_mul_f16_sdwa v1, v69, v1 dst_sel:DWORD dst_unused:UNUSED_PAD src0_sel:WORD_1 src1_sel:DWORD
	v_add_nc_u32_e32 v18, s2, v18
	v_or_b32_e32 v26, v28, v14
	v_cndmask_b32_e64 v10, 0, 1, vcc_lo
	v_cmp_ne_u32_e32 vcc_lo, 0, v24
	v_cvt_f64_f32_e32 v[13:14], v13
	v_lshl_or_b32 v28, v19, 12, v27
	v_fma_f16 v1, v69, v29, -v1
	v_and_or_b32 v10, 0xffe, v20, v10
	v_cndmask_b32_e64 v24, 0, 1, vcc_lo
	v_cmp_gt_i32_e32 vcc_lo, 1, v19
	v_sub_nc_u32_e32 v20, 0x3f1, v21
	v_cvt_f32_f16_e32 v1, v1
	v_add_nc_u32_e32 v21, 0xfffffc10, v21
	v_lshl_or_b32 v24, v24, 9, 0x7c00
	v_cndmask_b32_e32 v26, v28, v26, vcc_lo
	v_cmp_gt_i32_e32 vcc_lo, 31, v8
	v_or_b32_e32 v28, 0x1000, v10
	v_med3_i32 v20, v20, 0, 13
	v_cvt_f64_f32_e32 v[15:16], v1
	v_and_b32_e32 v29, 7, v26
	v_cndmask_b32_e32 v23, 0x7c00, v23, vcc_lo
	v_cmp_eq_u32_e32 vcc_lo, 0x40f, v8
	v_lshrrev_b32_e32 v30, v20, v28
	v_lshrrev_b32_e32 v1, 16, v9
	v_cmp_eq_u32_e64 s0, 3, v29
	v_lshrrev_b32_e32 v9, 2, v26
	v_cndmask_b32_e32 v8, v23, v24, vcc_lo
	v_cmp_lt_i32_e32 vcc_lo, 5, v29
	v_lshlrev_b32_e32 v20, v20, v30
	v_mul_f64 v[13:14], v[13:14], s[26:27]
	v_lshl_or_b32 v23, v21, 12, v10
	v_and_or_b32 v1, 0x8000, v1, v8
	s_or_b32 vcc_lo, s0, vcc_lo
	v_cmp_ne_u32_e64 s1, v20, v28
	v_add_co_ci_u32_e32 v9, vcc_lo, 0, v9, vcc_lo
	v_cmp_ne_u32_e32 vcc_lo, 0, v27
	global_store_dword v[5:6], v25, off
	global_store_dword v[17:18], v22, off
	v_cndmask_b32_e64 v20, 0, 1, s1
	v_lshrrev_b32_e32 v11, 16, v11
	v_cndmask_b32_e64 v24, 0, 1, vcc_lo
	v_cmp_gt_i32_e32 vcc_lo, 31, v19
	v_or_b32_e32 v20, v30, v20
	v_cndmask_b32_e32 v26, 0x7c00, v9, vcc_lo
	v_cmp_gt_i32_e32 vcc_lo, 1, v21
	v_mul_f64 v[8:9], v[15:16], s[26:27]
	v_lshrrev_b32_e32 v16, 16, v7
	v_and_or_b32 v13, 0x1ff, v14, v13
	v_lshrrev_b32_e32 v6, 8, v14
	v_cndmask_b32_e32 v20, v23, v20, vcc_lo
	v_lshl_or_b32 v23, v24, 9, 0x7c00
	v_cmp_eq_u32_e32 vcc_lo, 0x40f, v19
	v_cmp_ne_u32_e64 s1, 0, v13
	v_bfe_u32 v13, v14, 20, 11
	v_and_b32_e32 v27, 7, v20
	v_and_b32_e32 v24, 0xffff, v31
	v_cndmask_b32_e32 v15, v26, v23, vcc_lo
	v_cndmask_b32_e64 v5, 0, 1, s1
	v_cmp_lt_i32_e32 vcc_lo, 5, v27
	v_cmp_eq_u32_e64 s0, 3, v27
	v_and_or_b32 v12, 0x8000, v12, v15
	v_lshrrev_b32_e32 v15, 2, v20
	v_and_or_b32 v19, 0xffe, v6, v5
	v_sub_nc_u32_e32 v5, 0x3f1, v13
	s_or_b32 vcc_lo, s0, vcc_lo
	v_mul_f16_sdwa v6, v68, v16 dst_sel:DWORD dst_unused:UNUSED_PAD src0_sel:WORD_1 src1_sel:DWORD
	v_add_co_ci_u32_e32 v15, vcc_lo, 0, v15, vcc_lo
	v_cmp_ne_u32_e32 vcc_lo, 0, v10
	v_or_b32_e32 v20, 0x1000, v19
	v_med3_i32 v22, v5, 0, 13
	v_and_or_b32 v5, 0x1ff, v9, v8
	v_fmac_f16_e32 v6, v68, v7
	v_cndmask_b32_e64 v8, 0, 1, vcc_lo
	v_cmp_gt_i32_e32 vcc_lo, 31, v21
	v_lshrrev_b32_e32 v10, v22, v20
	v_lshrrev_b32_e32 v25, 8, v9
	v_bfe_u32 v26, v9, 20, 11
	v_lshl_or_b32 v8, v8, 9, 0x7c00
	v_cndmask_b32_e32 v15, 0x7c00, v15, vcc_lo
	v_cmp_ne_u32_e32 vcc_lo, 0, v5
	v_lshlrev_b32_e32 v22, v22, v10
	v_cvt_f32_f16_e32 v6, v6
	v_lshl_or_b32 v1, v1, 16, v24
	v_mul_f16_sdwa v7, v68, v7 dst_sel:DWORD dst_unused:UNUSED_PAD src0_sel:WORD_1 src1_sel:DWORD
	v_cndmask_b32_e64 v23, 0, 1, vcc_lo
	v_cmp_eq_u32_e32 vcc_lo, 0x40f, v21
	v_sub_nc_u32_e32 v21, 0x3f1, v26
	v_cvt_f64_f32_e32 v[5:6], v6
	v_and_b32_e32 v12, 0xffff, v12
	v_lshrrev_b32_e32 v9, 16, v9
	v_cndmask_b32_e32 v8, v15, v8, vcc_lo
	v_and_or_b32 v15, 0xffe, v25, v23
	v_cmp_ne_u32_e32 vcc_lo, v22, v20
	v_add_nc_u32_e32 v22, 0xfffffc10, v13
	v_med3_i32 v21, v21, 0, 13
	v_and_or_b32 v23, 0x8000, v11, v8
	v_or_b32_e32 v13, 0x1000, v15
	v_cndmask_b32_e64 v20, 0, 1, vcc_lo
	v_cmp_gt_i32_e32 vcc_lo, 1, v22
	v_fma_f16 v11, v68, v16, -v7
	v_lshrrev_b32_e32 v25, 16, v4
	v_lshrrev_b32_e32 v24, v21, v13
	v_or_b32_e32 v10, v10, v20
	v_lshl_or_b32 v20, v22, 12, v19
	v_cvt_f32_f16_e32 v11, v11
	v_cndmask_b32_e32 v20, v20, v10, vcc_lo
	v_lshlrev_b32_e32 v10, v21, v24
	v_add_co_u32 v7, vcc_lo, v17, s23
	v_mul_f64 v[5:6], v[5:6], s[26:27]
	v_and_b32_e32 v16, 7, v20
	v_cmp_ne_u32_e64 s0, v10, v13
	v_add_co_ci_u32_e32 v8, vcc_lo, s28, v18, vcc_lo
	v_cvt_f64_f32_e32 v[10:11], v11
	v_cmp_lt_i32_e32 vcc_lo, 5, v16
	v_cndmask_b32_e64 v13, 0, 1, s0
	v_cmp_eq_u32_e64 s0, 3, v16
	v_lshl_or_b32 v16, v23, 16, v12
	v_lshrrev_b32_e32 v12, 2, v20
	v_add_nc_u32_e32 v17, 0xfffffc10, v26
	v_or_b32_e32 v13, v24, v13
	s_or_b32 vcc_lo, s0, vcc_lo
	global_store_dword v[7:8], v1, off
	v_add_co_ci_u32_e32 v20, vcc_lo, 0, v12, vcc_lo
	v_cmp_ne_u32_e32 vcc_lo, 0, v19
	v_lshl_or_b32 v18, v17, 12, v15
	v_cndmask_b32_e64 v19, 0, 1, vcc_lo
	v_cmp_gt_i32_e32 vcc_lo, 1, v17
	v_and_or_b32 v5, 0x1ff, v6, v5
	v_lshrrev_b32_e32 v23, 8, v6
	v_bfe_u32 v24, v6, 20, 11
	v_mul_f64 v[10:11], v[10:11], s[26:27]
	v_cndmask_b32_e32 v18, v18, v13, vcc_lo
	v_add_co_u32 v12, vcc_lo, v7, s23
	v_add_co_ci_u32_e32 v13, vcc_lo, s28, v8, vcc_lo
	v_cmp_gt_i32_e32 vcc_lo, 31, v22
	v_lshl_or_b32 v19, v19, 9, 0x7c00
	v_and_b32_e32 v21, 7, v18
	v_lshrrev_b32_e32 v18, 2, v18
	v_lshrrev_b32_e32 v6, 16, v6
	v_cndmask_b32_e32 v20, 0x7c00, v20, vcc_lo
	v_cmp_ne_u32_e32 vcc_lo, 0, v5
	v_cmp_eq_u32_e64 s0, 3, v21
	global_store_dword v[12:13], v16, off
	v_cndmask_b32_e64 v5, 0, 1, vcc_lo
	v_cmp_eq_u32_e32 vcc_lo, 0x40f, v22
	v_and_or_b32 v22, 0xffe, v23, v5
	v_cndmask_b32_e32 v19, v20, v19, vcc_lo
	v_cmp_lt_i32_e32 vcc_lo, 5, v21
	v_mul_f16_sdwa v5, v67, v25 dst_sel:DWORD dst_unused:UNUSED_PAD src0_sel:WORD_1 src1_sel:DWORD
	v_lshrrev_b32_e32 v20, 16, v14
	v_sub_nc_u32_e32 v14, 0x3f1, v24
	v_or_b32_e32 v21, 0x1000, v22
	s_or_b32 vcc_lo, s0, vcc_lo
	v_fmac_f16_e32 v5, v67, v4
	v_add_co_ci_u32_e32 v18, vcc_lo, 0, v18, vcc_lo
	v_cmp_ne_u32_e32 vcc_lo, 0, v15
	v_med3_i32 v23, v14, 0, 13
	v_cvt_f32_f16_e32 v5, v5
	v_and_or_b32 v10, 0x1ff, v11, v10
	v_and_or_b32 v19, 0x8000, v20, v19
	v_cndmask_b32_e64 v27, 0, 1, vcc_lo
	v_cmp_gt_i32_e32 vcc_lo, 31, v17
	v_cvt_f64_f32_e32 v[14:15], v5
	v_lshrrev_b32_e32 v26, v23, v21
	v_lshrrev_b32_e32 v20, 8, v11
	v_mul_f16_sdwa v4, v67, v4 dst_sel:DWORD dst_unused:UNUSED_PAD src0_sel:WORD_1 src1_sel:DWORD
	v_cndmask_b32_e32 v5, 0x7c00, v18, vcc_lo
	v_cmp_ne_u32_e32 vcc_lo, 0, v10
	v_lshlrev_b32_e32 v18, v23, v26
	v_lshl_or_b32 v23, v27, 9, 0x7c00
	v_bfe_u32 v27, v11, 20, 11
	v_fma_f16 v4, v67, v25, -v4
	v_cndmask_b32_e64 v10, 0, 1, vcc_lo
	v_cmp_eq_u32_e32 vcc_lo, 0x40f, v17
	v_lshrrev_b32_e32 v11, 16, v11
	v_cvt_f32_f16_e32 v8, v4
	v_and_or_b32 v20, 0xffe, v20, v10
	v_cndmask_b32_e32 v5, v5, v23, vcc_lo
	v_cmp_ne_u32_e32 vcc_lo, v18, v21
	v_sub_nc_u32_e32 v10, 0x3f1, v27
	v_add_nc_u32_e32 v18, 0xfffffc10, v24
	v_or_b32_e32 v23, 0x1000, v20
	v_and_or_b32 v5, 0x8000, v9, v5
	v_cndmask_b32_e64 v17, 0, 1, vcc_lo
	v_med3_i32 v24, v10, 0, 13
	v_lshl_or_b32 v21, v18, 12, v22
	v_mul_f64 v[9:10], v[14:15], s[26:27]
	v_cmp_gt_i32_e32 vcc_lo, 1, v18
	v_or_b32_e32 v17, v26, v17
	v_lshrrev_b32_e32 v15, v24, v23
	v_and_b32_e32 v14, 0xffff, v19
	v_cndmask_b32_e32 v17, v21, v17, vcc_lo
	v_lshlrev_b32_e32 v7, v24, v15
	v_lshl_or_b32 v1, v5, 16, v14
	v_add_co_u32 v4, vcc_lo, v12, s23
	v_and_b32_e32 v14, 7, v17
	v_cmp_ne_u32_e64 s0, v7, v23
	v_add_co_ci_u32_e32 v5, vcc_lo, s28, v13, vcc_lo
	v_add_nc_u32_e32 v21, 0xfffffc10, v27
	v_cmp_lt_i32_e32 vcc_lo, 5, v14
	v_cndmask_b32_e64 v19, 0, 1, s0
	v_cmp_eq_u32_e64 s0, 3, v14
	v_lshrrev_b32_e32 v14, 2, v17
	v_lshl_or_b32 v17, v21, 12, v20
	v_and_or_b32 v9, 0x1ff, v10, v9
	v_or_b32_e32 v15, v15, v19
	s_or_b32 vcc_lo, s0, vcc_lo
	v_cvt_f64_f32_e32 v[7:8], v8
	v_add_co_ci_u32_e32 v14, vcc_lo, 0, v14, vcc_lo
	v_cmp_gt_i32_e32 vcc_lo, 1, v21
	v_lshrrev_b32_e32 v23, 16, v3
	v_bfe_u32 v19, v10, 20, 11
	global_store_dword v[4:5], v1, off
	v_mul_f16_sdwa v1, v66, v3 dst_sel:DWORD dst_unused:UNUSED_PAD src0_sel:WORD_1 src1_sel:DWORD
	v_cndmask_b32_e32 v15, v17, v15, vcc_lo
	v_cmp_ne_u32_e32 vcc_lo, 0, v9
	v_mul_f16_sdwa v25, v66, v23 dst_sel:DWORD dst_unused:UNUSED_PAD src0_sel:WORD_1 src1_sel:DWORD
	v_lshrrev_b32_e32 v17, 8, v10
	v_fma_f16 v1, v66, v23, -v1
	v_and_b32_e32 v24, 7, v15
	v_cndmask_b32_e64 v9, 0, 1, vcc_lo
	v_cmp_ne_u32_e32 vcc_lo, 0, v22
	v_fmac_f16_e32 v25, v66, v3
	v_lshrrev_b32_e32 v15, 2, v15
	v_cmp_eq_u32_e64 s0, 3, v24
	v_and_or_b32 v9, 0xffe, v17, v9
	v_cndmask_b32_e64 v22, 0, 1, vcc_lo
	v_cmp_gt_i32_e32 vcc_lo, 31, v18
	v_sub_nc_u32_e32 v17, 0x3f1, v19
	v_mul_f64 v[7:8], v[7:8], s[26:27]
	v_or_b32_e32 v27, 0x1000, v9
	v_add_nc_u32_e32 v19, 0xfffffc10, v19
	v_cndmask_b32_e32 v26, 0x7c00, v14, vcc_lo
	v_cmp_lt_i32_e32 vcc_lo, 5, v24
	v_cvt_f32_f16_e32 v24, v25
	v_med3_i32 v14, v17, 0, 13
	v_lshl_or_b32 v17, v22, 9, 0x7c00
	v_cvt_f32_f16_e32 v1, v1
	s_or_b32 vcc_lo, s0, vcc_lo
	v_add_co_u32 v4, s1, v4, s23
	v_add_co_ci_u32_e32 v25, vcc_lo, 0, v15, vcc_lo
	v_cmp_ne_u32_e32 vcc_lo, 0, v20
	v_lshrrev_b32_e32 v22, v14, v27
	v_add_co_ci_u32_e64 v5, s1, s28, v5, s1
	v_cndmask_b32_e64 v20, 0, 1, vcc_lo
	v_cmp_gt_i32_e32 vcc_lo, 31, v21
	v_lshlrev_b32_e32 v28, v14, v22
	v_cvt_f64_f32_e32 v[14:15], v24
	v_and_or_b32 v7, 0x1ff, v8, v7
	v_lshl_or_b32 v20, v20, 9, 0x7c00
	v_cndmask_b32_e32 v24, 0x7c00, v25, vcc_lo
	v_cmp_eq_u32_e32 vcc_lo, 0x40f, v18
	v_cndmask_b32_e32 v17, v26, v17, vcc_lo
	v_cmp_ne_u32_e32 vcc_lo, v28, v27
	v_and_or_b32 v17, 0x8000, v6, v17
	v_cndmask_b32_e64 v18, 0, 1, vcc_lo
	v_cmp_eq_u32_e32 vcc_lo, 0x40f, v21
	v_lshrrev_b32_e32 v21, 8, v8
	v_and_b32_e32 v17, 0xffff, v17
	v_or_b32_e32 v18, v22, v18
	v_cndmask_b32_e32 v20, v24, v20, vcc_lo
	v_cmp_ne_u32_e32 vcc_lo, 0, v7
	v_bfe_u32 v24, v8, 20, 11
	v_lshl_or_b32 v22, v19, 12, v9
	v_lshrrev_b32_e32 v8, 16, v8
	v_and_or_b32 v11, 0x8000, v11, v20
	v_cndmask_b32_e64 v7, 0, 1, vcc_lo
	v_cmp_gt_i32_e32 vcc_lo, 1, v19
	v_sub_nc_u32_e32 v25, 0x3f1, v24
	v_lshl_or_b32 v16, v11, 16, v17
	v_and_or_b32 v21, 0xffe, v21, v7
	v_mul_f64 v[6:7], v[14:15], s[26:27]
	v_cndmask_b32_e32 v14, v22, v18, vcc_lo
	v_med3_i32 v18, v25, 0, 13
	v_cvt_f64_f32_e32 v[11:12], v1
	v_or_b32_e32 v15, 0x1000, v21
	global_store_dword v[4:5], v16, off
	v_and_b32_e32 v20, 7, v14
	v_lshrrev_b32_e32 v14, 2, v14
	v_lshrrev_b32_e32 v13, v18, v15
	v_cmp_lt_i32_e32 vcc_lo, 5, v20
	v_cmp_eq_u32_e64 s0, 3, v20
	v_lshlrev_b32_e32 v3, v18, v13
	v_lshrrev_b32_e32 v18, 16, v0
	s_or_b32 vcc_lo, s0, vcc_lo
	v_add_co_ci_u32_e32 v1, vcc_lo, 0, v14, vcc_lo
	v_cmp_ne_u32_e64 s1, v3, v15
	v_and_or_b32 v6, 0x1ff, v7, v6
	v_cmp_ne_u32_e32 vcc_lo, 0, v9
	v_add_nc_u32_e32 v15, 0xfffffc10, v24
	v_lshrrev_b32_e32 v14, 8, v7
	v_cndmask_b32_e64 v3, 0, 1, s1
	v_bfe_u32 v17, v7, 20, 11
	v_cndmask_b32_e64 v9, 0, 1, vcc_lo
	v_cmp_ne_u32_e32 vcc_lo, 0, v6
	v_mul_f16_sdwa v20, v65, v18 dst_sel:DWORD dst_unused:UNUSED_PAD src0_sel:WORD_1 src1_sel:DWORD
	v_or_b32_e32 v3, v13, v3
	v_lshl_or_b32 v13, v15, 12, v21
	v_mul_f64 v[11:12], v[11:12], s[26:27]
	v_cndmask_b32_e64 v6, 0, 1, vcc_lo
	v_cmp_gt_i32_e32 vcc_lo, 1, v15
	v_fmac_f16_e32 v20, v65, v0
	v_lshl_or_b32 v9, v9, 9, 0x7c00
	v_cmp_eq_u32_e64 s1, 0x40f, v19
	v_and_or_b32 v6, 0xffe, v14, v6
	v_cndmask_b32_e32 v3, v13, v3, vcc_lo
	v_sub_nc_u32_e32 v14, 0x3f1, v17
	v_cmp_gt_i32_e32 vcc_lo, 31, v19
	v_lshrrev_b32_e32 v19, 16, v10
	v_or_b32_e32 v22, 0x1000, v6
	v_and_b32_e32 v13, 7, v3
	v_med3_i32 v23, v14, 0, 13
	v_cndmask_b32_e32 v1, 0x7c00, v1, vcc_lo
	v_lshrrev_b32_e32 v3, 2, v3
	v_cvt_f32_f16_e32 v14, v20
	v_cmp_lt_i32_e32 vcc_lo, 5, v13
	v_cmp_eq_u32_e64 s0, 3, v13
	v_lshrrev_b32_e32 v20, v23, v22
	v_cndmask_b32_e64 v1, v1, v9, s1
	v_cvt_f64_f32_e32 v[13:14], v14
	v_add_nc_u32_e32 v17, 0xfffffc10, v17
	s_or_b32 vcc_lo, s0, vcc_lo
	v_lshlrev_b32_e32 v23, v23, v20
	v_add_co_ci_u32_e32 v3, vcc_lo, 0, v3, vcc_lo
	v_cmp_ne_u32_e32 vcc_lo, 0, v21
	v_and_or_b32 v11, 0x1ff, v12, v11
	v_lshl_or_b32 v21, v17, 12, v6
	v_and_or_b32 v1, 0x8000, v19, v1
	v_mul_f16_sdwa v0, v65, v0 dst_sel:DWORD dst_unused:UNUSED_PAD src0_sel:WORD_1 src1_sel:DWORD
	v_cndmask_b32_e64 v9, 0, 1, vcc_lo
	v_cmp_ne_u32_e32 vcc_lo, v23, v22
	v_lshrrev_b32_e32 v22, 16, v2
	v_lshrrev_b32_e32 v7, 16, v7
	v_fma_f16 v0, v65, v18, -v0
	v_lshl_or_b32 v9, v9, 9, 0x7c00
	v_cndmask_b32_e64 v10, 0, 1, vcc_lo
	v_cmp_gt_i32_e32 vcc_lo, 31, v15
	v_and_b32_e32 v18, 0xffff, v1
	v_cvt_f32_f16_e32 v0, v0
	v_or_b32_e32 v20, v20, v10
	v_cndmask_b32_e32 v3, 0x7c00, v3, vcc_lo
	v_cmp_eq_u32_e32 vcc_lo, 0x40f, v15
	v_bfe_u32 v15, v12, 20, 11
	v_cvt_f64_f32_e32 v[0:1], v0
	v_cndmask_b32_e32 v3, v3, v9, vcc_lo
	v_cmp_gt_i32_e32 vcc_lo, 1, v17
	v_mul_f64 v[9:10], v[13:14], s[26:27]
	v_lshrrev_b32_e32 v14, 8, v12
	v_lshrrev_b32_e32 v12, 16, v12
	v_and_or_b32 v3, 0x8000, v8, v3
	v_cndmask_b32_e32 v13, v21, v20, vcc_lo
	v_cmp_ne_u32_e32 vcc_lo, 0, v11
	v_lshl_or_b32 v3, v3, 16, v18
	v_and_b32_e32 v19, 7, v13
	v_cndmask_b32_e64 v11, 0, 1, vcc_lo
	v_lshrrev_b32_e32 v13, 2, v13
	v_cmp_lt_i32_e32 vcc_lo, 5, v19
	v_and_or_b32 v11, 0xffe, v14, v11
	v_sub_nc_u32_e32 v14, 0x3f1, v15
	v_cmp_eq_u32_e64 s0, 3, v19
	v_or_b32_e32 v8, 0x1000, v11
	v_med3_i32 v14, v14, 0, 13
	s_or_b32 vcc_lo, s0, vcc_lo
	v_and_or_b32 v9, 0x1ff, v10, v9
	v_add_co_ci_u32_e32 v13, vcc_lo, 0, v13, vcc_lo
	v_lshrrev_b32_e32 v19, v14, v8
	v_cmp_gt_i32_e32 vcc_lo, 31, v17
	v_lshrrev_b32_e32 v16, 8, v10
	v_bfe_u32 v18, v10, 20, 11
	v_lshlrev_b32_e32 v14, v14, v19
	v_cndmask_b32_e32 v13, 0x7c00, v13, vcc_lo
	v_cmp_ne_u32_e32 vcc_lo, 0, v9
	v_cndmask_b32_e64 v9, 0, 1, vcc_lo
	v_cmp_ne_u32_e32 vcc_lo, v14, v8
	v_add_nc_u32_e32 v14, 0xfffffc10, v15
	v_and_or_b32 v15, 0xffe, v16, v9
	v_cndmask_b32_e64 v8, 0, 1, vcc_lo
	v_cmp_ne_u32_e32 vcc_lo, 0, v6
	v_sub_nc_u32_e32 v9, 0x3f1, v18
	v_lshl_or_b32 v21, v14, 12, v11
	v_or_b32_e32 v16, v19, v8
	v_cndmask_b32_e64 v6, 0, 1, vcc_lo
	v_cmp_gt_i32_e32 vcc_lo, 1, v14
	v_or_b32_e32 v19, 0x1000, v15
	v_med3_i32 v20, v9, 0, 13
	v_mul_f64 v[8:9], v[0:1], s[26:27]
	v_lshl_or_b32 v6, v6, 9, 0x7c00
	v_cndmask_b32_e32 v16, v21, v16, vcc_lo
	v_mul_f16_sdwa v21, v64, v22 dst_sel:DWORD dst_unused:UNUSED_PAD src0_sel:WORD_1 src1_sel:DWORD
	v_lshrrev_b32_e32 v23, v20, v19
	v_mad_u64_u32 v[0:1], null, 0xffffd63c, s24, v[4:5]
	v_and_b32_e32 v5, 7, v16
	v_cmp_eq_u32_e32 vcc_lo, 0x40f, v17
	v_lshlrev_b32_e32 v4, v20, v23
	v_fmac_f16_e32 v21, v64, v2
	v_lshrrev_b32_e32 v16, 2, v16
	v_cmp_eq_u32_e64 s0, 3, v5
	v_cndmask_b32_e32 v6, v13, v6, vcc_lo
	v_cmp_lt_i32_e32 vcc_lo, 5, v5
	v_cmp_ne_u32_e64 s1, v4, v19
	v_cvt_f32_f16_e32 v5, v21
	v_add_nc_u32_e32 v17, 0xfffffc10, v18
	v_and_or_b32 v6, 0x8000, v7, v6
	s_or_b32 vcc_lo, s0, vcc_lo
	v_cndmask_b32_e64 v13, 0, 1, s1
	v_add_co_ci_u32_e32 v16, vcc_lo, 0, v16, vcc_lo
	v_cmp_ne_u32_e32 vcc_lo, 0, v11
	v_cvt_f64_f32_e32 v[4:5], v5
	v_and_or_b32 v8, 0x1ff, v9, v8
	v_or_b32_e32 v13, v23, v13
	v_lshl_or_b32 v18, v17, 12, v15
	v_cndmask_b32_e64 v11, 0, 1, vcc_lo
	v_cmp_gt_i32_e32 vcc_lo, 1, v17
	v_bfe_u32 v19, v9, 20, 11
	v_mul_f16_sdwa v2, v64, v2 dst_sel:DWORD dst_unused:UNUSED_PAD src0_sel:WORD_1 src1_sel:DWORD
	v_and_b32_e32 v6, 0xffff, v6
	v_lshl_or_b32 v11, v11, 9, 0x7c00
	v_cndmask_b32_e32 v13, v18, v13, vcc_lo
	v_cmp_ne_u32_e32 vcc_lo, 0, v8
	v_lshrrev_b32_e32 v18, 8, v9
	v_fma_f16 v2, v64, v22, -v2
	v_add_nc_u32_e32 v1, s2, v1
	v_and_b32_e32 v20, 7, v13
	v_cndmask_b32_e64 v8, 0, 1, vcc_lo
	v_cmp_gt_i32_e32 vcc_lo, 31, v14
	v_cvt_f32_f16_e32 v2, v2
	v_cmp_eq_u32_e64 s0, 3, v20
	v_and_or_b32 v8, 0xffe, v18, v8
	v_cndmask_b32_e32 v16, 0x7c00, v16, vcc_lo
	v_cmp_eq_u32_e32 vcc_lo, 0x40f, v14
	v_sub_nc_u32_e32 v18, 0x3f1, v19
	v_mul_f64 v[4:5], v[4:5], s[26:27]
	v_or_b32_e32 v14, 0x1000, v8
	v_add_nc_u32_e32 v19, 0xfffffc10, v19
	v_cndmask_b32_e32 v11, v16, v11, vcc_lo
	v_med3_i32 v16, v18, 0, 13
	v_cmp_lt_i32_e32 vcc_lo, 5, v20
	v_and_or_b32 v7, 0x8000, v12, v11
	v_lshrrev_b32_e32 v12, 2, v13
	v_lshrrev_b32_e32 v11, v16, v14
	s_or_b32 vcc_lo, s0, vcc_lo
	ds_read_b32 v13, v62 offset:13608
	v_lshl_or_b32 v18, v7, 16, v6
	v_add_co_ci_u32_e32 v12, vcc_lo, 0, v12, vcc_lo
	v_lshlrev_b32_e32 v16, v16, v11
	v_cmp_ne_u32_e32 vcc_lo, 0, v15
	v_cvt_f64_f32_e32 v[6:7], v2
	v_cndmask_b32_e64 v15, 0, 1, vcc_lo
	v_cmp_ne_u32_e32 vcc_lo, v16, v14
	v_and_or_b32 v4, 0x1ff, v5, v4
	v_lshrrev_b32_e32 v16, 8, v5
	v_bfe_u32 v20, v5, 20, 11
	v_lshrrev_b32_e32 v5, 16, v5
	v_cndmask_b32_e64 v14, 0, 1, vcc_lo
	v_cmp_gt_i32_e32 vcc_lo, 31, v17
	v_or_b32_e32 v11, v11, v14
	v_cndmask_b32_e32 v12, 0x7c00, v12, vcc_lo
	v_cmp_ne_u32_e32 vcc_lo, 0, v4
	s_waitcnt lgkmcnt(0)
	v_lshrrev_b32_e32 v4, 16, v13
	v_lshl_or_b32 v14, v19, 12, v8
	v_cndmask_b32_e64 v2, 0, 1, vcc_lo
	v_cmp_gt_i32_e32 vcc_lo, 1, v19
	v_mul_f16_sdwa v21, v63, v4 dst_sel:DWORD dst_unused:UNUSED_PAD src0_sel:WORD_1 src1_sel:DWORD
	v_mul_f64 v[6:7], v[6:7], s[26:27]
	v_and_or_b32 v2, 0xffe, v16, v2
	v_sub_nc_u32_e32 v16, 0x3f1, v20
	v_cndmask_b32_e32 v14, v14, v11, vcc_lo
	v_fmac_f16_e32 v21, v63, v13
	v_lshl_or_b32 v11, v15, 9, 0x7c00
	v_or_b32_e32 v15, 0x1000, v2
	v_med3_i32 v16, v16, 0, 13
	v_and_b32_e32 v22, 7, v14
	v_cmp_eq_u32_e32 vcc_lo, 0x40f, v17
	v_cvt_f32_f16_e32 v21, v21
	v_mul_f16_sdwa v13, v63, v13 dst_sel:DWORD dst_unused:UNUSED_PAD src0_sel:WORD_1 src1_sel:DWORD
	v_lshrrev_b32_e32 v23, v16, v15
	v_cmp_eq_u32_e64 s0, 3, v22
	v_cndmask_b32_e32 v17, v12, v11, vcc_lo
	v_cmp_lt_i32_e32 vcc_lo, 5, v22
	v_cvt_f64_f32_e32 v[11:12], v21
	v_lshrrev_b32_e32 v21, 16, v10
	v_lshrrev_b32_e32 v10, 2, v14
	v_lshlrev_b32_e32 v14, v16, v23
	s_or_b32 vcc_lo, s0, vcc_lo
	v_fma_f16 v4, v63, v4, -v13
	v_add_nc_u32_e32 v20, 0xfffffc10, v20
	v_add_co_ci_u32_e32 v10, vcc_lo, 0, v10, vcc_lo
	v_cmp_ne_u32_e32 vcc_lo, v14, v15
	v_cvt_f32_f16_e32 v4, v4
	v_and_or_b32 v6, 0x1ff, v7, v6
	v_and_or_b32 v17, 0x8000, v21, v17
	v_cndmask_b32_e64 v13, 0, 1, vcc_lo
	v_cmp_ne_u32_e32 vcc_lo, 0, v8
	v_and_b32_e32 v17, 0xffff, v17
	v_or_b32_e32 v22, v23, v13
	v_cndmask_b32_e64 v8, 0, 1, vcc_lo
	v_cmp_gt_i32_e32 vcc_lo, 31, v19
	v_cvt_f64_f32_e32 v[13:14], v4
	v_lshl_or_b32 v23, v20, 12, v2
	v_lshl_or_b32 v8, v8, 9, 0x7c00
	v_cndmask_b32_e32 v4, 0x7c00, v10, vcc_lo
	v_add_co_u32 v15, vcc_lo, v0, s23
	v_add_co_ci_u32_e32 v16, vcc_lo, s28, v1, vcc_lo
	v_cmp_gt_i32_e32 vcc_lo, 1, v20
	v_mul_f64 v[10:11], v[11:12], s[26:27]
	v_cndmask_b32_e32 v12, v23, v22, vcc_lo
	v_cmp_eq_u32_e32 vcc_lo, 0x40f, v19
	v_bfe_u32 v19, v7, 20, 11
	v_lshrrev_b32_e32 v22, 16, v9
	v_and_b32_e32 v23, 7, v12
	v_cndmask_b32_e32 v4, v4, v8, vcc_lo
	v_cmp_ne_u32_e32 vcc_lo, 0, v6
	v_lshrrev_b32_e32 v8, 8, v7
	v_sub_nc_u32_e32 v21, 0x3f1, v19
	v_cmp_eq_u32_e64 s0, 3, v23
	v_lshrrev_b32_e32 v12, 2, v12
	v_cndmask_b32_e64 v6, 0, 1, vcc_lo
	v_cmp_lt_i32_e32 vcc_lo, 5, v23
	v_and_or_b32 v4, 0x8000, v22, v4
	v_lshrrev_b32_e32 v7, 16, v7
	v_and_or_b32 v6, 0xffe, v8, v6
	v_mul_f64 v[8:9], v[13:14], s[26:27]
	v_med3_i32 v14, v21, 0, 13
	v_and_or_b32 v10, 0x1ff, v11, v10
	s_or_b32 vcc_lo, s0, vcc_lo
	v_or_b32_e32 v13, 0x1000, v6
	v_add_co_ci_u32_e32 v12, vcc_lo, 0, v12, vcc_lo
	v_cmp_ne_u32_e32 vcc_lo, 0, v10
	v_lshrrev_b32_e32 v22, 8, v11
	v_lshrrev_b32_e32 v21, v14, v13
	v_bfe_u32 v23, v11, 20, 11
	v_lshrrev_b32_e32 v11, 16, v11
	v_cndmask_b32_e64 v10, 0, 1, vcc_lo
	v_cmp_ne_u32_e32 vcc_lo, 0, v2
	v_lshlrev_b32_e32 v14, v14, v21
	v_and_or_b32 v10, 0xffe, v22, v10
	v_cndmask_b32_e64 v2, 0, 1, vcc_lo
	v_cmp_ne_u32_e32 vcc_lo, v14, v13
	v_sub_nc_u32_e32 v22, 0x3f1, v23
	v_add_nc_u32_e32 v14, 0xfffffc10, v19
	v_and_or_b32 v8, 0x1ff, v9, v8
	v_or_b32_e32 v19, 0x1000, v10
	v_cndmask_b32_e64 v13, 0, 1, vcc_lo
	v_cmp_gt_i32_e32 vcc_lo, 31, v20
	v_med3_i32 v22, v22, 0, 13
	v_lshrrev_b32_e32 v24, 8, v9
	v_bfe_u32 v25, v9, 20, 11
	v_or_b32_e32 v13, v21, v13
	v_cndmask_b32_e32 v12, 0x7c00, v12, vcc_lo
	v_cmp_ne_u32_e32 vcc_lo, 0, v8
	v_lshl_or_b32 v21, v14, 12, v6
	v_lshrrev_b32_e32 v26, v22, v19
	v_lshl_or_b32 v2, v2, 9, 0x7c00
	v_lshrrev_b32_e32 v9, 16, v9
	v_cndmask_b32_e64 v8, 0, 1, vcc_lo
	v_cmp_gt_i32_e32 vcc_lo, 1, v14
	v_and_or_b32 v8, 0xffe, v24, v8
	v_sub_nc_u32_e32 v24, 0x3f1, v25
	v_cndmask_b32_e32 v13, v21, v13, vcc_lo
	v_lshlrev_b32_e32 v21, v22, v26
	v_cmp_eq_u32_e32 vcc_lo, 0x40f, v20
	v_or_b32_e32 v22, 0x1000, v8
	v_med3_i32 v24, v24, 0, 13
	v_and_b32_e32 v27, 7, v13
	v_lshrrev_b32_e32 v13, 2, v13
	v_cndmask_b32_e32 v2, v12, v2, vcc_lo
	v_cmp_ne_u32_e32 vcc_lo, v21, v19
	v_add_nc_u32_e32 v19, 0xfffffc10, v23
	v_lshrrev_b32_e32 v20, v24, v22
	v_cmp_eq_u32_e64 s0, 3, v27
	v_and_or_b32 v2, 0x8000, v5, v2
	v_cndmask_b32_e64 v12, 0, 1, vcc_lo
	v_lshl_or_b32 v21, v19, 12, v10
	v_lshlrev_b32_e32 v23, v24, v20
	v_cmp_gt_i32_e64 s1, 1, v19
	v_cmp_lt_i32_e32 vcc_lo, 5, v27
	v_or_b32_e32 v12, v26, v12
	v_and_b32_e32 v2, 0xffff, v2
	s_or_b32 vcc_lo, s0, vcc_lo
	v_cndmask_b32_e64 v12, v21, v12, s1
	v_cmp_ne_u32_e64 s1, v23, v22
	v_add_nc_u32_e32 v22, 0xfffffc10, v25
	v_add_co_ci_u32_e32 v13, vcc_lo, 0, v13, vcc_lo
	v_and_b32_e32 v23, 7, v12
	v_cndmask_b32_e64 v21, 0, 1, s1
	v_cmp_ne_u32_e32 vcc_lo, 0, v6
	v_cmp_gt_i32_e64 s0, 1, v22
	v_lshrrev_b32_e32 v12, 2, v12
	v_cmp_gt_i32_e64 s1, 31, v14
	v_or_b32_e32 v20, v20, v21
	v_lshl_or_b32 v21, v22, 12, v8
	v_cndmask_b32_e64 v6, 0, 1, vcc_lo
	v_cmp_lt_i32_e32 vcc_lo, 5, v23
	v_cndmask_b32_e64 v13, 0x7c00, v13, s1
	v_cmp_eq_u32_e64 s1, 0x40f, v14
	v_cndmask_b32_e64 v5, v21, v20, s0
	v_cmp_eq_u32_e64 s0, 3, v23
	v_lshl_or_b32 v6, v6, 9, 0x7c00
	v_and_b32_e32 v20, 7, v5
	s_or_b32 vcc_lo, s0, vcc_lo
	v_lshrrev_b32_e32 v5, 2, v5
	v_add_co_ci_u32_e32 v12, vcc_lo, 0, v12, vcc_lo
	v_cmp_ne_u32_e32 vcc_lo, 0, v10
	v_cmp_eq_u32_e64 s0, 3, v20
	v_cndmask_b32_e64 v6, v13, v6, s1
	v_cmp_gt_i32_e64 s1, 31, v19
	v_cndmask_b32_e64 v10, 0, 1, vcc_lo
	v_cmp_lt_i32_e32 vcc_lo, 5, v20
	v_and_or_b32 v6, 0x8000, v7, v6
	v_cndmask_b32_e64 v12, 0x7c00, v12, s1
	v_lshl_or_b32 v10, v10, 9, 0x7c00
	s_or_b32 vcc_lo, s0, vcc_lo
	v_lshl_or_b32 v2, v6, 16, v2
	v_add_co_ci_u32_e32 v5, vcc_lo, 0, v5, vcc_lo
	v_cmp_ne_u32_e32 vcc_lo, 0, v8
	v_cndmask_b32_e64 v8, 0, 1, vcc_lo
	v_cmp_eq_u32_e32 vcc_lo, 0x40f, v19
	v_lshl_or_b32 v8, v8, 9, 0x7c00
	v_cndmask_b32_e32 v10, v12, v10, vcc_lo
	v_cmp_gt_i32_e32 vcc_lo, 31, v22
	v_lshl_or_b32 v12, v4, 16, v17
	v_and_or_b32 v7, 0x8000, v11, v10
	v_cndmask_b32_e32 v5, 0x7c00, v5, vcc_lo
	v_cmp_eq_u32_e32 vcc_lo, 0x40f, v22
	v_cndmask_b32_e32 v8, v5, v8, vcc_lo
	v_add_co_u32 v4, vcc_lo, v15, s23
	v_add_co_ci_u32_e32 v5, vcc_lo, s28, v16, vcc_lo
	v_and_or_b32 v8, 0x8000, v9, v8
	v_and_b32_e32 v9, 0xffff, v7
	v_add_co_u32 v6, vcc_lo, v4, s23
	v_add_co_ci_u32_e32 v7, vcc_lo, s28, v5, vcc_lo
	v_lshl_or_b32 v10, v8, 16, v9
	v_add_co_u32 v8, vcc_lo, v6, s23
	v_add_co_ci_u32_e32 v9, vcc_lo, s28, v7, vcc_lo
	global_store_dword v[0:1], v3, off
	global_store_dword v[15:16], v18, off
	global_store_dword v[4:5], v12, off
	global_store_dword v[6:7], v2, off
	global_store_dword v[8:9], v10, off
.LBB0_2:
	s_endpgm
	.section	.rodata,"a",@progbits
	.p2align	6, 0x0
	.amdhsa_kernel bluestein_single_fwd_len3645_dim1_half_op_CI_CI
		.amdhsa_group_segment_fixed_size 14580
		.amdhsa_private_segment_fixed_size 0
		.amdhsa_kernarg_size 104
		.amdhsa_user_sgpr_count 6
		.amdhsa_user_sgpr_private_segment_buffer 1
		.amdhsa_user_sgpr_dispatch_ptr 0
		.amdhsa_user_sgpr_queue_ptr 0
		.amdhsa_user_sgpr_kernarg_segment_ptr 1
		.amdhsa_user_sgpr_dispatch_id 0
		.amdhsa_user_sgpr_flat_scratch_init 0
		.amdhsa_user_sgpr_private_segment_size 0
		.amdhsa_wavefront_size32 1
		.amdhsa_uses_dynamic_stack 0
		.amdhsa_system_sgpr_private_segment_wavefront_offset 0
		.amdhsa_system_sgpr_workgroup_id_x 1
		.amdhsa_system_sgpr_workgroup_id_y 0
		.amdhsa_system_sgpr_workgroup_id_z 0
		.amdhsa_system_sgpr_workgroup_info 0
		.amdhsa_system_vgpr_workitem_id 0
		.amdhsa_next_free_vgpr 157
		.amdhsa_next_free_sgpr 29
		.amdhsa_reserve_vcc 1
		.amdhsa_reserve_flat_scratch 0
		.amdhsa_float_round_mode_32 0
		.amdhsa_float_round_mode_16_64 0
		.amdhsa_float_denorm_mode_32 3
		.amdhsa_float_denorm_mode_16_64 3
		.amdhsa_dx10_clamp 1
		.amdhsa_ieee_mode 1
		.amdhsa_fp16_overflow 0
		.amdhsa_workgroup_processor_mode 1
		.amdhsa_memory_ordered 1
		.amdhsa_forward_progress 0
		.amdhsa_shared_vgpr_count 0
		.amdhsa_exception_fp_ieee_invalid_op 0
		.amdhsa_exception_fp_denorm_src 0
		.amdhsa_exception_fp_ieee_div_zero 0
		.amdhsa_exception_fp_ieee_overflow 0
		.amdhsa_exception_fp_ieee_underflow 0
		.amdhsa_exception_fp_ieee_inexact 0
		.amdhsa_exception_int_div_zero 0
	.end_amdhsa_kernel
	.text
.Lfunc_end0:
	.size	bluestein_single_fwd_len3645_dim1_half_op_CI_CI, .Lfunc_end0-bluestein_single_fwd_len3645_dim1_half_op_CI_CI
                                        ; -- End function
	.section	.AMDGPU.csdata,"",@progbits
; Kernel info:
; codeLenInByte = 28032
; NumSgprs: 31
; NumVgprs: 157
; ScratchSize: 0
; MemoryBound: 0
; FloatMode: 240
; IeeeMode: 1
; LDSByteSize: 14580 bytes/workgroup (compile time only)
; SGPRBlocks: 3
; VGPRBlocks: 19
; NumSGPRsForWavesPerEU: 31
; NumVGPRsForWavesPerEU: 157
; Occupancy: 6
; WaveLimiterHint : 1
; COMPUTE_PGM_RSRC2:SCRATCH_EN: 0
; COMPUTE_PGM_RSRC2:USER_SGPR: 6
; COMPUTE_PGM_RSRC2:TRAP_HANDLER: 0
; COMPUTE_PGM_RSRC2:TGID_X_EN: 1
; COMPUTE_PGM_RSRC2:TGID_Y_EN: 0
; COMPUTE_PGM_RSRC2:TGID_Z_EN: 0
; COMPUTE_PGM_RSRC2:TIDIG_COMP_CNT: 0
	.text
	.p2alignl 6, 3214868480
	.fill 48, 4, 3214868480
	.type	__hip_cuid_f42fca2d967812fd,@object ; @__hip_cuid_f42fca2d967812fd
	.section	.bss,"aw",@nobits
	.globl	__hip_cuid_f42fca2d967812fd
__hip_cuid_f42fca2d967812fd:
	.byte	0                               ; 0x0
	.size	__hip_cuid_f42fca2d967812fd, 1

	.ident	"AMD clang version 19.0.0git (https://github.com/RadeonOpenCompute/llvm-project roc-6.4.0 25133 c7fe45cf4b819c5991fe208aaa96edf142730f1d)"
	.section	".note.GNU-stack","",@progbits
	.addrsig
	.addrsig_sym __hip_cuid_f42fca2d967812fd
	.amdgpu_metadata
---
amdhsa.kernels:
  - .args:
      - .actual_access:  read_only
        .address_space:  global
        .offset:         0
        .size:           8
        .value_kind:     global_buffer
      - .actual_access:  read_only
        .address_space:  global
        .offset:         8
        .size:           8
        .value_kind:     global_buffer
      - .actual_access:  read_only
        .address_space:  global
        .offset:         16
        .size:           8
        .value_kind:     global_buffer
      - .actual_access:  read_only
        .address_space:  global
        .offset:         24
        .size:           8
        .value_kind:     global_buffer
      - .actual_access:  read_only
        .address_space:  global
        .offset:         32
        .size:           8
        .value_kind:     global_buffer
      - .offset:         40
        .size:           8
        .value_kind:     by_value
      - .address_space:  global
        .offset:         48
        .size:           8
        .value_kind:     global_buffer
      - .address_space:  global
        .offset:         56
        .size:           8
        .value_kind:     global_buffer
      - .address_space:  global
        .offset:         64
        .size:           8
        .value_kind:     global_buffer
      - .address_space:  global
        .offset:         72
        .size:           8
        .value_kind:     global_buffer
      - .offset:         80
        .size:           4
        .value_kind:     by_value
      - .address_space:  global
        .offset:         88
        .size:           8
        .value_kind:     global_buffer
      - .address_space:  global
        .offset:         96
        .size:           8
        .value_kind:     global_buffer
    .group_segment_fixed_size: 14580
    .kernarg_segment_align: 8
    .kernarg_segment_size: 104
    .language:       OpenCL C
    .language_version:
      - 2
      - 0
    .max_flat_workgroup_size: 243
    .name:           bluestein_single_fwd_len3645_dim1_half_op_CI_CI
    .private_segment_fixed_size: 0
    .sgpr_count:     31
    .sgpr_spill_count: 0
    .symbol:         bluestein_single_fwd_len3645_dim1_half_op_CI_CI.kd
    .uniform_work_group_size: 1
    .uses_dynamic_stack: false
    .vgpr_count:     157
    .vgpr_spill_count: 0
    .wavefront_size: 32
    .workgroup_processor_mode: 1
amdhsa.target:   amdgcn-amd-amdhsa--gfx1030
amdhsa.version:
  - 1
  - 2
...

	.end_amdgpu_metadata
